;; amdgpu-corpus repo=ROCm/rocFFT kind=compiled arch=gfx906 opt=O3
	.text
	.amdgcn_target "amdgcn-amd-amdhsa--gfx906"
	.amdhsa_code_object_version 6
	.protected	fft_rtc_back_len442_factors_17_2_13_wgs_238_tpt_34_halfLds_half_op_CI_CI_sbrr_dirReg ; -- Begin function fft_rtc_back_len442_factors_17_2_13_wgs_238_tpt_34_halfLds_half_op_CI_CI_sbrr_dirReg
	.globl	fft_rtc_back_len442_factors_17_2_13_wgs_238_tpt_34_halfLds_half_op_CI_CI_sbrr_dirReg
	.p2align	8
	.type	fft_rtc_back_len442_factors_17_2_13_wgs_238_tpt_34_halfLds_half_op_CI_CI_sbrr_dirReg,@function
fft_rtc_back_len442_factors_17_2_13_wgs_238_tpt_34_halfLds_half_op_CI_CI_sbrr_dirReg: ; @fft_rtc_back_len442_factors_17_2_13_wgs_238_tpt_34_halfLds_half_op_CI_CI_sbrr_dirReg
; %bb.0:
	s_load_dwordx4 s[16:19], s[4:5], 0x18
	s_load_dwordx4 s[12:15], s[4:5], 0x0
	;; [unrolled: 1-line block ×3, first 2 shown]
	v_mul_u32_u24_e32 v1, 0x788, v0
	v_lshrrev_b32_e32 v1, 16, v1
	s_waitcnt lgkmcnt(0)
	s_load_dwordx2 s[2:3], s[16:17], 0x0
	s_load_dwordx2 s[20:21], s[18:19], 0x0
	v_mad_u64_u32 v[1:2], s[0:1], s6, 7, v[1:2]
	v_mov_b32_e32 v10, 0
	v_mov_b32_e32 v2, v10
	v_cmp_lt_u64_e64 s[0:1], s[14:15], 2
	v_mov_b32_e32 v8, 0
	v_mov_b32_e32 v9, 0
	;; [unrolled: 1-line block ×4, first 2 shown]
	s_and_b64 vcc, exec, s[0:1]
	v_mov_b32_e32 v5, v9
	v_mov_b32_e32 v6, v1
	s_cbranch_vccnz .LBB0_8
; %bb.1:
	s_load_dwordx2 s[0:1], s[4:5], 0x10
	s_add_u32 s6, s18, 8
	s_addc_u32 s7, s19, 0
	s_add_u32 s22, s16, 8
	s_addc_u32 s23, s17, 0
	v_mov_b32_e32 v8, 0
	s_waitcnt lgkmcnt(0)
	s_add_u32 s24, s0, 8
	v_mov_b32_e32 v9, 0
	v_mov_b32_e32 v4, v8
	;; [unrolled: 1-line block ×3, first 2 shown]
	s_addc_u32 s25, s1, 0
	s_mov_b64 s[26:27], 1
	v_mov_b32_e32 v5, v9
	v_mov_b32_e32 v2, v1
.LBB0_2:                                ; =>This Inner Loop Header: Depth=1
	s_load_dwordx2 s[28:29], s[24:25], 0x0
                                        ; implicit-def: $vgpr6_vgpr7
	s_waitcnt lgkmcnt(0)
	v_or_b32_e32 v11, s29, v3
	v_cmp_ne_u64_e32 vcc, 0, v[10:11]
	s_and_saveexec_b64 s[0:1], vcc
	s_xor_b64 s[30:31], exec, s[0:1]
	s_cbranch_execz .LBB0_4
; %bb.3:                                ;   in Loop: Header=BB0_2 Depth=1
	v_cvt_f32_u32_e32 v6, s28
	v_cvt_f32_u32_e32 v7, s29
	s_sub_u32 s0, 0, s28
	s_subb_u32 s1, 0, s29
	v_mac_f32_e32 v6, 0x4f800000, v7
	v_rcp_f32_e32 v6, v6
	v_mul_f32_e32 v6, 0x5f7ffffc, v6
	v_mul_f32_e32 v7, 0x2f800000, v6
	v_trunc_f32_e32 v7, v7
	v_mac_f32_e32 v6, 0xcf800000, v7
	v_cvt_u32_f32_e32 v7, v7
	v_cvt_u32_f32_e32 v6, v6
	v_mul_lo_u32 v11, s0, v7
	v_mul_hi_u32 v12, s0, v6
	v_mul_lo_u32 v14, s1, v6
	v_mul_lo_u32 v13, s0, v6
	v_add_u32_e32 v11, v12, v11
	v_add_u32_e32 v11, v11, v14
	v_mul_hi_u32 v12, v6, v13
	v_mul_lo_u32 v14, v6, v11
	v_mul_hi_u32 v16, v6, v11
	v_mul_hi_u32 v15, v7, v13
	v_mul_lo_u32 v13, v7, v13
	v_mul_hi_u32 v17, v7, v11
	v_add_co_u32_e32 v12, vcc, v12, v14
	v_addc_co_u32_e32 v14, vcc, 0, v16, vcc
	v_mul_lo_u32 v11, v7, v11
	v_add_co_u32_e32 v12, vcc, v12, v13
	v_addc_co_u32_e32 v12, vcc, v14, v15, vcc
	v_addc_co_u32_e32 v13, vcc, 0, v17, vcc
	v_add_co_u32_e32 v11, vcc, v12, v11
	v_addc_co_u32_e32 v12, vcc, 0, v13, vcc
	v_add_co_u32_e32 v6, vcc, v6, v11
	v_addc_co_u32_e32 v7, vcc, v7, v12, vcc
	v_mul_lo_u32 v11, s0, v7
	v_mul_hi_u32 v12, s0, v6
	v_mul_lo_u32 v13, s1, v6
	v_mul_lo_u32 v14, s0, v6
	v_add_u32_e32 v11, v12, v11
	v_add_u32_e32 v11, v11, v13
	v_mul_lo_u32 v15, v6, v11
	v_mul_hi_u32 v16, v6, v14
	v_mul_hi_u32 v17, v6, v11
	;; [unrolled: 1-line block ×3, first 2 shown]
	v_mul_lo_u32 v14, v7, v14
	v_mul_hi_u32 v12, v7, v11
	v_add_co_u32_e32 v15, vcc, v16, v15
	v_addc_co_u32_e32 v16, vcc, 0, v17, vcc
	v_mul_lo_u32 v11, v7, v11
	v_add_co_u32_e32 v14, vcc, v15, v14
	v_addc_co_u32_e32 v13, vcc, v16, v13, vcc
	v_addc_co_u32_e32 v12, vcc, 0, v12, vcc
	v_add_co_u32_e32 v11, vcc, v13, v11
	v_addc_co_u32_e32 v12, vcc, 0, v12, vcc
	v_add_co_u32_e32 v11, vcc, v6, v11
	v_addc_co_u32_e32 v12, vcc, v7, v12, vcc
	v_mad_u64_u32 v[6:7], s[0:1], v2, v12, 0
	v_mul_hi_u32 v13, v2, v11
	v_add_co_u32_e32 v13, vcc, v13, v6
	v_addc_co_u32_e32 v14, vcc, 0, v7, vcc
	v_mad_u64_u32 v[6:7], s[0:1], v3, v11, 0
	v_mad_u64_u32 v[11:12], s[0:1], v3, v12, 0
	v_add_co_u32_e32 v6, vcc, v13, v6
	v_addc_co_u32_e32 v6, vcc, v14, v7, vcc
	v_addc_co_u32_e32 v7, vcc, 0, v12, vcc
	v_add_co_u32_e32 v11, vcc, v6, v11
	v_addc_co_u32_e32 v12, vcc, 0, v7, vcc
	v_mul_lo_u32 v13, s29, v11
	v_mul_lo_u32 v14, s28, v12
	v_mad_u64_u32 v[6:7], s[0:1], s28, v11, 0
	v_add3_u32 v7, v7, v14, v13
	v_sub_u32_e32 v13, v3, v7
	v_mov_b32_e32 v14, s29
	v_sub_co_u32_e32 v6, vcc, v2, v6
	v_subb_co_u32_e64 v13, s[0:1], v13, v14, vcc
	v_subrev_co_u32_e64 v14, s[0:1], s28, v6
	v_subbrev_co_u32_e64 v13, s[0:1], 0, v13, s[0:1]
	v_cmp_le_u32_e64 s[0:1], s29, v13
	v_cndmask_b32_e64 v15, 0, -1, s[0:1]
	v_cmp_le_u32_e64 s[0:1], s28, v14
	v_cndmask_b32_e64 v14, 0, -1, s[0:1]
	v_cmp_eq_u32_e64 s[0:1], s29, v13
	v_cndmask_b32_e64 v13, v15, v14, s[0:1]
	v_add_co_u32_e64 v14, s[0:1], 2, v11
	v_addc_co_u32_e64 v15, s[0:1], 0, v12, s[0:1]
	v_add_co_u32_e64 v16, s[0:1], 1, v11
	v_addc_co_u32_e64 v17, s[0:1], 0, v12, s[0:1]
	v_subb_co_u32_e32 v7, vcc, v3, v7, vcc
	v_cmp_ne_u32_e64 s[0:1], 0, v13
	v_cmp_le_u32_e32 vcc, s29, v7
	v_cndmask_b32_e64 v13, v17, v15, s[0:1]
	v_cndmask_b32_e64 v15, 0, -1, vcc
	v_cmp_le_u32_e32 vcc, s28, v6
	v_cndmask_b32_e64 v6, 0, -1, vcc
	v_cmp_eq_u32_e32 vcc, s29, v7
	v_cndmask_b32_e32 v6, v15, v6, vcc
	v_cmp_ne_u32_e32 vcc, 0, v6
	v_cndmask_b32_e64 v6, v16, v14, s[0:1]
	v_cndmask_b32_e32 v7, v12, v13, vcc
	v_cndmask_b32_e32 v6, v11, v6, vcc
.LBB0_4:                                ;   in Loop: Header=BB0_2 Depth=1
	s_andn2_saveexec_b64 s[0:1], s[30:31]
	s_cbranch_execz .LBB0_6
; %bb.5:                                ;   in Loop: Header=BB0_2 Depth=1
	v_cvt_f32_u32_e32 v6, s28
	s_sub_i32 s30, 0, s28
	v_rcp_iflag_f32_e32 v6, v6
	v_mul_f32_e32 v6, 0x4f7ffffe, v6
	v_cvt_u32_f32_e32 v6, v6
	v_mul_lo_u32 v7, s30, v6
	v_mul_hi_u32 v7, v6, v7
	v_add_u32_e32 v6, v6, v7
	v_mul_hi_u32 v6, v2, v6
	v_mul_lo_u32 v7, v6, s28
	v_add_u32_e32 v11, 1, v6
	v_sub_u32_e32 v7, v2, v7
	v_subrev_u32_e32 v12, s28, v7
	v_cmp_le_u32_e32 vcc, s28, v7
	v_cndmask_b32_e32 v7, v7, v12, vcc
	v_cndmask_b32_e32 v6, v6, v11, vcc
	v_add_u32_e32 v11, 1, v6
	v_cmp_le_u32_e32 vcc, s28, v7
	v_cndmask_b32_e32 v6, v6, v11, vcc
	v_mov_b32_e32 v7, v10
.LBB0_6:                                ;   in Loop: Header=BB0_2 Depth=1
	s_or_b64 exec, exec, s[0:1]
	v_mul_lo_u32 v13, v7, s28
	v_mul_lo_u32 v14, v6, s29
	v_mad_u64_u32 v[11:12], s[0:1], v6, s28, 0
	s_load_dwordx2 s[0:1], s[22:23], 0x0
	s_load_dwordx2 s[28:29], s[6:7], 0x0
	v_add3_u32 v12, v12, v14, v13
	v_sub_co_u32_e32 v2, vcc, v2, v11
	v_subb_co_u32_e32 v3, vcc, v3, v12, vcc
	s_waitcnt lgkmcnt(0)
	v_mul_lo_u32 v11, s0, v3
	v_mul_lo_u32 v12, s1, v2
	v_mad_u64_u32 v[8:9], s[0:1], s0, v2, v[8:9]
	v_mul_lo_u32 v3, s28, v3
	v_mul_lo_u32 v13, s29, v2
	v_mad_u64_u32 v[4:5], s[0:1], s28, v2, v[4:5]
	s_add_u32 s26, s26, 1
	s_addc_u32 s27, s27, 0
	s_add_u32 s6, s6, 8
	v_add3_u32 v5, v13, v5, v3
	s_addc_u32 s7, s7, 0
	v_mov_b32_e32 v2, s14
	s_add_u32 s22, s22, 8
	v_mov_b32_e32 v3, s15
	s_addc_u32 s23, s23, 0
	v_cmp_ge_u64_e32 vcc, s[26:27], v[2:3]
	s_add_u32 s24, s24, 8
	v_add3_u32 v9, v12, v9, v11
	s_addc_u32 s25, s25, 0
	s_cbranch_vccnz .LBB0_8
; %bb.7:                                ;   in Loop: Header=BB0_2 Depth=1
	v_mov_b32_e32 v2, v6
	v_mov_b32_e32 v3, v7
	s_branch .LBB0_2
.LBB0_8:
	s_lshl_b64 s[22:23], s[14:15], 3
	s_load_dwordx2 s[0:1], s[4:5], 0x28
	s_add_u32 s4, s18, s22
	s_mov_b32 s5, 0x7878788
	v_mul_hi_u32 v2, v0, s5
	s_addc_u32 s5, s19, s23
	s_load_dwordx2 s[4:5], s[4:5], 0x0
	s_waitcnt lgkmcnt(0)
	v_cmp_gt_u64_e32 vcc, s[0:1], v[6:7]
	v_mul_u32_u24_e32 v2, 34, v2
	v_sub_u32_e32 v11, v0, v2
	v_mov_b32_e32 v0, 0
	v_mov_b32_e32 v10, 0
	;; [unrolled: 1-line block ×3, first 2 shown]
                                        ; implicit-def: $vgpr19
                                        ; implicit-def: $vgpr16
                                        ; implicit-def: $vgpr20
                                        ; implicit-def: $vgpr15
                                        ; implicit-def: $vgpr21
                                        ; implicit-def: $vgpr14
                                        ; implicit-def: $vgpr22
                                        ; implicit-def: $vgpr13
                                        ; implicit-def: $vgpr23
                                        ; implicit-def: $vgpr12
                                        ; implicit-def: $vgpr24
                                        ; implicit-def: $vgpr3
                                        ; implicit-def: $vgpr25
                                        ; implicit-def: $vgpr2
                                        ; implicit-def: $vgpr26
                                        ; implicit-def: $vgpr35
                                        ; implicit-def: $vgpr27
                                        ; implicit-def: $vgpr36
                                        ; implicit-def: $vgpr28
                                        ; implicit-def: $vgpr37
                                        ; implicit-def: $vgpr29
                                        ; implicit-def: $vgpr38
                                        ; implicit-def: $vgpr30
                                        ; implicit-def: $vgpr39
                                        ; implicit-def: $vgpr31
                                        ; implicit-def: $vgpr40
                                        ; implicit-def: $vgpr34
                                        ; implicit-def: $vgpr43
                                        ; implicit-def: $vgpr32
                                        ; implicit-def: $vgpr42
                                        ; implicit-def: $vgpr33
                                        ; implicit-def: $vgpr41
	s_and_saveexec_b64 s[6:7], vcc
	s_cbranch_execz .LBB0_12
; %bb.9:
	v_cmp_gt_u32_e64 s[0:1], 26, v11
	v_mov_b32_e32 v17, 0
	v_mov_b32_e32 v0, 0
                                        ; implicit-def: $vgpr41
                                        ; implicit-def: $vgpr33
                                        ; implicit-def: $vgpr42
                                        ; implicit-def: $vgpr32
                                        ; implicit-def: $vgpr43
                                        ; implicit-def: $vgpr34
                                        ; implicit-def: $vgpr40
                                        ; implicit-def: $vgpr31
                                        ; implicit-def: $vgpr39
                                        ; implicit-def: $vgpr30
                                        ; implicit-def: $vgpr38
                                        ; implicit-def: $vgpr29
                                        ; implicit-def: $vgpr37
                                        ; implicit-def: $vgpr28
                                        ; implicit-def: $vgpr36
                                        ; implicit-def: $vgpr27
                                        ; implicit-def: $vgpr35
                                        ; implicit-def: $vgpr26
                                        ; implicit-def: $vgpr2
                                        ; implicit-def: $vgpr25
                                        ; implicit-def: $vgpr3
                                        ; implicit-def: $vgpr24
                                        ; implicit-def: $vgpr12
                                        ; implicit-def: $vgpr23
                                        ; implicit-def: $vgpr13
                                        ; implicit-def: $vgpr22
                                        ; implicit-def: $vgpr14
                                        ; implicit-def: $vgpr21
                                        ; implicit-def: $vgpr15
                                        ; implicit-def: $vgpr20
                                        ; implicit-def: $vgpr16
                                        ; implicit-def: $vgpr19
	s_and_saveexec_b64 s[14:15], s[0:1]
	s_cbranch_execz .LBB0_11
; %bb.10:
	s_add_u32 s0, s16, s22
	s_addc_u32 s1, s17, s23
	s_load_dwordx2 s[0:1], s[0:1], 0x0
	v_mad_u64_u32 v[2:3], s[16:17], s2, v11, 0
	v_lshlrev_b64 v[8:9], 2, v[8:9]
	v_add_u32_e32 v37, 0xea, v11
	s_waitcnt lgkmcnt(0)
	v_mul_lo_u32 v10, s1, v6
	v_mul_lo_u32 v16, s0, v7
	v_mad_u64_u32 v[12:13], s[0:1], s0, v6, 0
	v_mov_b32_e32 v0, v3
	v_mad_u64_u32 v[14:15], s[0:1], s3, v11, v[0:1]
	v_add3_u32 v13, v13, v16, v10
	v_lshlrev_b64 v[12:13], 2, v[12:13]
	v_mov_b32_e32 v3, v14
	v_mov_b32_e32 v0, s9
	v_add_co_u32_e64 v10, s[0:1], s8, v12
	v_add_u32_e32 v14, 26, v11
	v_addc_co_u32_e64 v0, s[0:1], v0, v13, s[0:1]
	v_mad_u64_u32 v[12:13], s[0:1], s2, v14, 0
	v_add_co_u32_e64 v43, s[0:1], v10, v8
	v_addc_co_u32_e64 v44, s[0:1], v0, v9, s[0:1]
	v_mov_b32_e32 v0, v13
	v_mad_u64_u32 v[8:9], s[0:1], s3, v14, v[0:1]
	v_add_u32_e32 v14, 52, v11
	v_mad_u64_u32 v[9:10], s[0:1], s2, v14, 0
	v_lshlrev_b64 v[2:3], 2, v[2:3]
	v_mov_b32_e32 v13, v8
	v_add_co_u32_e64 v18, s[0:1], v43, v2
	v_mov_b32_e32 v0, v10
	v_addc_co_u32_e64 v19, s[0:1], v44, v3, s[0:1]
	v_lshlrev_b64 v[2:3], 2, v[12:13]
	v_mad_u64_u32 v[12:13], s[0:1], s3, v14, v[0:1]
	v_add_u32_e32 v8, 0x4e, v11
	v_mad_u64_u32 v[13:14], s[0:1], s2, v8, 0
	v_add_co_u32_e64 v20, s[0:1], v43, v2
	v_mov_b32_e32 v10, v12
	v_mov_b32_e32 v0, v14
	v_addc_co_u32_e64 v21, s[0:1], v44, v3, s[0:1]
	v_lshlrev_b64 v[2:3], 2, v[9:10]
	v_mad_u64_u32 v[8:9], s[0:1], s3, v8, v[0:1]
	v_add_u32_e32 v12, 0x68, v11
	v_mad_u64_u32 v[9:10], s[0:1], s2, v12, 0
	v_add_co_u32_e64 v22, s[0:1], v43, v2
	v_mov_b32_e32 v14, v8
	;; [unrolled: 8-line block ×5, first 2 shown]
	v_mov_b32_e32 v0, v14
	v_addc_co_u32_e64 v29, s[0:1], v44, v3, s[0:1]
	v_lshlrev_b64 v[2:3], 2, v[9:10]
	v_mad_u64_u32 v[8:9], s[0:1], s3, v8, v[0:1]
	v_add_co_u32_e64 v9, s[0:1], v43, v2
	v_mov_b32_e32 v14, v8
	v_add_u32_e32 v8, 0xd0, v11
	v_addc_co_u32_e64 v10, s[0:1], v44, v3, s[0:1]
	v_mad_u64_u32 v[30:31], s[0:1], s2, v8, 0
	v_lshlrev_b64 v[2:3], 2, v[13:14]
	v_add_co_u32_e64 v32, s[0:1], v43, v2
	v_mov_b32_e32 v0, v31
	v_addc_co_u32_e64 v33, s[0:1], v44, v3, s[0:1]
	v_mad_u64_u32 v[34:35], s[0:1], s3, v8, v[0:1]
	v_mad_u64_u32 v[35:36], s[0:1], s2, v37, 0
	global_load_dword v17, v[18:19], off
	global_load_dword v16, v[20:21], off
	;; [unrolled: 1-line block ×8, first 2 shown]
	v_add_u32_e32 v10, 0x104, v11
	v_mov_b32_e32 v0, v36
	v_mad_u64_u32 v[18:19], s[0:1], s3, v37, v[0:1]
	v_mad_u64_u32 v[19:20], s[0:1], s2, v10, 0
	v_mov_b32_e32 v31, v34
	v_lshlrev_b64 v[8:9], 2, v[30:31]
	v_mov_b32_e32 v0, v20
	v_add_co_u32_e64 v8, s[0:1], v43, v8
	v_addc_co_u32_e64 v9, s[0:1], v44, v9, s[0:1]
	v_mad_u64_u32 v[23:24], s[0:1], s3, v10, v[0:1]
	v_add_u32_e32 v10, 0x11e, v11
	v_mad_u64_u32 v[24:25], s[0:1], s2, v10, 0
	v_mov_b32_e32 v36, v18
	v_lshlrev_b64 v[21:22], 2, v[35:36]
	v_mov_b32_e32 v0, v25
	v_add_co_u32_e64 v21, s[0:1], v43, v21
	v_addc_co_u32_e64 v22, s[0:1], v44, v22, s[0:1]
	v_mad_u64_u32 v[25:26], s[0:1], s3, v10, v[0:1]
	v_add_u32_e32 v10, 0x138, v11
	;; [unrolled: 8-line block ×3, first 2 shown]
	v_mad_u64_u32 v[28:29], s[0:1], s2, v10, 0
	v_lshlrev_b64 v[23:24], 2, v[24:25]
	v_lshlrev_b64 v[25:26], 2, v[26:27]
	v_add_co_u32_e64 v23, s[0:1], v43, v23
	v_mov_b32_e32 v0, v29
	v_addc_co_u32_e64 v24, s[0:1], v44, v24, s[0:1]
	v_mad_u64_u32 v[29:30], s[0:1], s3, v10, v[0:1]
	v_add_u32_e32 v10, 0x16c, v11
	v_mad_u64_u32 v[30:31], s[0:1], s2, v10, 0
	v_add_co_u32_e64 v25, s[0:1], v43, v25
	v_mov_b32_e32 v0, v31
	v_addc_co_u32_e64 v26, s[0:1], v44, v26, s[0:1]
	v_mad_u64_u32 v[31:32], s[0:1], s3, v10, v[0:1]
	v_add_u32_e32 v10, 0x186, v11
	v_mad_u64_u32 v[32:33], s[0:1], s2, v10, 0
	v_lshlrev_b64 v[27:28], 2, v[28:29]
	v_lshlrev_b64 v[29:30], 2, v[30:31]
	v_add_co_u32_e64 v27, s[0:1], v43, v27
	v_mov_b32_e32 v0, v33
	v_addc_co_u32_e64 v28, s[0:1], v44, v28, s[0:1]
	v_mad_u64_u32 v[33:34], s[0:1], s3, v10, v[0:1]
	v_add_co_u32_e64 v29, s[0:1], v43, v29
	v_or_b32_e32 v10, 0x1a0, v11
	v_addc_co_u32_e64 v30, s[0:1], v44, v30, s[0:1]
	v_lshlrev_b64 v[31:32], 2, v[32:33]
	v_mad_u64_u32 v[33:34], s[0:1], s2, v10, 0
	v_add_co_u32_e64 v31, s[0:1], v43, v31
	v_mov_b32_e32 v0, v34
	v_addc_co_u32_e64 v32, s[0:1], v44, v32, s[0:1]
	v_mad_u64_u32 v[34:35], s[0:1], s3, v10, v[0:1]
	global_load_dword v35, v[8:9], off
	global_load_dword v36, v[21:22], off
	;; [unrolled: 1-line block ×8, first 2 shown]
	s_waitcnt vmcnt(15)
	v_lshrrev_b32_e32 v0, 16, v17
	v_lshlrev_b64 v[8:9], 2, v[33:34]
	s_waitcnt vmcnt(14)
	v_lshrrev_b32_e32 v19, 16, v16
	v_add_co_u32_e64 v8, s[0:1], v43, v8
	v_addc_co_u32_e64 v9, s[0:1], v44, v9, s[0:1]
	global_load_dword v43, v[8:9], off
	s_waitcnt vmcnt(14)
	v_lshrrev_b32_e32 v20, 16, v15
	s_waitcnt vmcnt(13)
	v_lshrrev_b32_e32 v21, 16, v14
	;; [unrolled: 2-line block ×15, first 2 shown]
.LBB0_11:
	s_or_b64 exec, exec, s[14:15]
	v_mov_b32_e32 v10, v11
.LBB0_12:
	s_or_b64 exec, exec, s[6:7]
	s_mov_b32 s0, 0x24924925
	v_mul_hi_u32 v8, v1, s0
	v_sub_f16_e32 v48, v19, v34
	s_mov_b32 s0, 0xbbf7bbb2
	v_add_f16_e32 v47, v16, v43
	v_sub_u32_e32 v9, v1, v8
	v_lshrrev_b32_e32 v9, 1, v9
	v_add_u32_e32 v8, v9, v8
	v_lshrrev_b32_e32 v8, 2, v8
	v_mul_lo_u32 v8, v8, 7
	v_sub_f16_e32 v46, v20, v32
	s_mov_b32 s6, 0x2de8b461
	v_pk_mul_f16 v58, v48, s0 op_sel_hi:[0,1]
	s_mov_b32 s0, 0xb1e13836
	v_add_f16_e32 v45, v15, v42
	v_sub_u32_e32 v8, v1, v8
	v_pk_fma_f16 v1, v47, s6, v58 op_sel_hi:[0,1,1] neg_lo:[0,0,1] neg_hi:[0,0,1]
	s_mov_b32 s8, 0xbbddbacd
	v_pk_mul_f16 v57, v46, s0 op_sel_hi:[0,1]
	v_sub_f16_e32 v54, v21, v33
	s_mov_b32 s0, 0x3bb23964
	v_add_f16_e32 v44, v14, v41
	v_pk_add_f16 v1, v17, v1 op_sel_hi:[0,1]
	v_pk_fma_f16 v9, v45, s8, v57 op_sel_hi:[0,1,1] neg_lo:[0,0,1] neg_hi:[0,0,1]
	s_mov_b32 s7, 0xb46139e9
	v_pk_mul_f16 v49, v54, s0 op_sel_hi:[0,1]
	s_mov_b32 s0, 0x35c8bb29
	v_sub_f16_e32 v56, v22, v31
	v_pk_add_f16 v1, v1, v9
	v_pk_fma_f16 v9, v44, s7, v49 op_sel_hi:[0,1,1] neg_lo:[0,0,1] neg_hi:[0,0,1]
	s_mov_b32 s15, 0x3b763722
	v_add_f16_e32 v55, v13, v40
	v_pk_mul_f16 v50, v56, s0 op_sel_hi:[0,1]
	s_mov_b32 s0, 0xbb29b1e1
	v_sub_f16_e32 v60, v23, v30
	v_pk_add_f16 v1, v1, v9
	v_pk_fma_f16 v9, v55, s15, v50 op_sel_hi:[0,1,1] neg_lo:[0,0,1] neg_hi:[0,0,1]
	s_mov_b32 s14, 0x3722bbdd
	v_add_f16_e32 v59, v12, v39
	v_pk_mul_f16 v52, v60, s0 op_sel_hi:[0,1]
	s_mov_b32 s0, 0xb8363bf7
	v_sub_f16_e32 v62, v24, v29
	v_pk_add_f16 v1, v9, v1
	v_pk_fma_f16 v9, v59, s14, v52 op_sel_hi:[0,1,1] neg_lo:[0,0,1] neg_hi:[0,0,1]
	s_mov_b32 s16, 0xbacd2de8
	v_add_f16_e32 v61, v3, v38
	v_pk_mul_f16 v51, v62, s0 op_sel_hi:[0,1]
	s_mov_b32 s0, 0x3a62b5c8
	v_sub_f16_e32 v64, v25, v28
	v_pk_add_f16 v1, v9, v1
	v_pk_fma_f16 v9, v61, s16, v51 op_sel_hi:[0,1,1] neg_lo:[0,0,1] neg_hi:[0,0,1]
	s_mov_b32 s17, 0xb8d23b76
	v_add_f16_e32 v63, v2, v37
	v_pk_mul_f16 v53, v64, s0 op_sel_hi:[0,1]
	v_pk_add_f16 v1, v9, v1
	v_pk_fma_f16 v9, v63, s17, v53 op_sel_hi:[0,1,1] neg_lo:[0,0,1] neg_hi:[0,0,1]
	s_mov_b32 s0, 0x3964ba62
	v_sub_f16_e32 v65, v26, v27
	v_pk_add_f16 v9, v9, v1
	s_mov_b32 s18, 0x39e9b8d2
	v_add_f16_e32 v18, v35, v36
	v_pk_mul_f16 v1, v65, s0 op_sel_hi:[0,1]
	v_pk_fma_f16 v66, v18, s18, v1 op_sel_hi:[0,1,1] neg_lo:[0,0,1] neg_hi:[0,0,1]
	v_mul_u32_u24_e32 v8, 0x1ba, v8
	v_pk_add_f16 v9, v66, v9
	v_cmp_gt_u32_e64 s[2:3], 26, v11
	v_lshlrev_b32_e32 v8, 1, v8
	s_and_saveexec_b64 s[0:1], s[2:3]
	s_cbranch_execz .LBB0_14
; %bb.13:
	v_mul_f16_e32 v88, 0xb8d2, v47
	s_movk_i32 s19, 0x3a62
	v_fma_f16 v89, v48, s19, v88
	v_mul_f16_e32 v90, 0xb461, v45
	s_mov_b32 s19, 0xbbb2
	v_add_f16_e32 v89, v17, v89
	v_fma_f16 v91, v46, s19, v90
	v_add_f16_e32 v89, v89, v91
	v_mul_f16_e32 v91, 0x3b76, v44
	s_movk_i32 s19, 0x35c8
	v_fma_f16 v92, v54, s19, v91
	v_add_f16_e32 v89, v89, v92
	v_mul_f16_e32 v92, 0xbacd, v55
	s_movk_i32 s19, 0x3836
	v_fma_f16 v93, v56, s19, v92
	v_add_f16_e32 v89, v93, v89
	v_mul_f16_e32 v93, 0x2de8, v59
	s_mov_b32 s19, 0xbbf7
	v_fma_f16 v94, v60, s19, v93
	v_add_f16_e32 v89, v94, v89
	v_mul_f16_e32 v94, 0x39e9, v61
	s_movk_i32 s19, 0x3964
	v_fma_f16 v95, v62, s19, v94
	v_add_f16_e32 v89, v95, v89
	v_mul_f16_e32 v95, 0xbbdd, v63
	s_movk_i32 s19, 0x31e1
	v_fma_f16 v96, v64, s19, v95
	v_add_f16_e32 v89, v96, v89
	s_movk_i32 s19, 0x3722
	v_mul_f16_e32 v96, 0x3b29, v65
	v_fma_f16 v97, v18, s19, -v96
	s_mov_b32 s19, 0xba62
	v_fma_f16 v88, v48, s19, v88
	s_movk_i32 s19, 0x3bb2
	v_add_f16_e32 v88, v17, v88
	v_fma_f16 v90, v46, s19, v90
	s_mov_b32 s19, 0xb5c8
	v_add_f16_e32 v88, v88, v90
	v_fma_f16 v90, v54, s19, v91
	s_mov_b32 s19, 0xb836
	v_add_f16_e32 v88, v88, v90
	v_fma_f16 v90, v56, s19, v92
	s_movk_i32 s19, 0x3bf7
	v_add_f16_e32 v88, v90, v88
	v_fma_f16 v90, v60, s19, v93
	s_mov_b32 s19, 0xb964
	v_pk_mul_f16 v67, v47, s6 op_sel_hi:[0,1]
	v_add_f16_e32 v88, v90, v88
	v_fma_f16 v90, v62, s19, v94
	v_pk_mul_f16 v71, v45, s8 op_sel_hi:[0,1]
	v_add_f16_e32 v88, v90, v88
	v_add_f16_e32 v90, v58, v67
	v_pk_mul_f16 v74, v44, s7 op_sel_hi:[0,1]
	v_add_f16_e32 v90, v17, v90
	v_add_f16_e32 v91, v57, v71
	;; [unrolled: 3-line block ×3, first 2 shown]
	v_pack_b32_f16 v68, v48, v48
	v_pk_mul_f16 v80, v59, s14 op_sel_hi:[0,1]
	v_add_f16_e32 v90, v90, v91
	v_add_f16_e32 v91, v50, v77
	v_mul_f16_e32 v102, 0x3722, v47
	v_mul_f16_e32 v48, 0xbb29, v48
	s_mov_b32 s28, 0xffff
	v_pack_b32_f16 v66, v47, v47
	s_mov_b32 s9, 0x5040100
	v_pk_mul_f16 v83, v61, s16 op_sel_hi:[0,1]
	v_add_f16_e32 v90, v91, v90
	v_add_f16_e32 v91, v52, v80
	v_bfi_b32 v47, s28, v48, v58
	v_bfi_b32 v58, s28, v102, v67
	v_mul_f16_e32 v67, 0xb8d2, v45
	v_mul_f16_e32 v103, 0xba62, v46
	v_perm_b32 v69, v17, v17, s9
	v_pack_b32_f16 v70, v45, v45
	v_pack_b32_f16 v72, v46, v46
	;; [unrolled: 1-line block ×3, first 2 shown]
	v_add_f16_e32 v90, v91, v90
	v_add_f16_e32 v91, v51, v83
	s_mov_b32 s19, 0x39e93b76
	v_pk_add_f16 v47, v47, v58
	v_bfi_b32 v45, s28, v103, v57
	v_bfi_b32 v46, s28, v67, v71
	v_mul_f16_e32 v71, 0xbbdd, v44
	v_mul_f16_e32 v54, 0x31e1, v54
	v_pack_b32_f16 v73, v44, v44
	v_add_f16_e32 v90, v91, v90
	v_pk_mul_f16 v91, v66, s19
	s_mov_b32 s19, 0xb964b5c8
	s_mov_b32 s22, 0x2de839e9
	v_pk_add_f16 v45, v45, v46
	v_pk_add_f16 v47, v69, v47
	v_bfi_b32 v44, s28, v54, v49
	v_bfi_b32 v49, s28, v71, v74
	v_pack_b32_f16 v76, v55, v55
	v_pack_b32_f16 v78, v56, v56
	v_pk_mul_f16 v92, v70, s22
	s_mov_b32 s22, 0xbbf7b964
	s_mov_b32 s23, 0xb8d23722
	v_pk_fma_f16 v100, v68, s19, v91
	v_pk_add_f16 v45, v47, v45
	v_mul_f16_e32 v55, 0xb461, v55
	v_mul_f16_e32 v56, 0x3bb2, v56
	v_pk_add_f16 v44, v44, v49
	v_pk_mul_f16 v93, v73, s23
	s_mov_b32 s23, 0xba62bb29
	s_mov_b32 s24, 0xbbdd2de8
	v_pk_add_f16 v100, v69, v100
	v_pk_fma_f16 v101, v72, s22, v92
	v_pk_add_f16 v44, v45, v44
	v_bfi_b32 v45, s28, v56, v50
	v_bfi_b32 v50, s28, v55, v77
	v_pack_b32_f16 v79, v59, v59
	v_pack_b32_f16 v81, v60, v60
	v_pk_mul_f16 v94, v76, s24
	s_mov_b32 s24, 0xb1e1bbf7
	s_mov_b32 s25, 0xbacdb461
	v_pk_add_f16 v100, v100, v101
	v_pk_fma_f16 v101, v75, s23, v93
	v_mul_f16_e32 v59, 0x39e9, v59
	v_mul_f16_e32 v60, 0x3964, v60
	v_pk_add_f16 v45, v45, v50
	v_pack_b32_f16 v82, v61, v61
	v_add_f16_e32 v89, v97, v89
	v_pk_mul_f16 v97, v79, s25
	s_mov_b32 s25, 0x3836bbb2
	s_mov_b32 s26, 0xb461b8d2
	v_pk_add_f16 v100, v100, v101
	v_pk_fma_f16 v101, v78, s24, v94
	v_pk_add_f16 v44, v45, v44
	v_bfi_b32 v45, s28, v60, v52
	v_bfi_b32 v52, s28, v59, v80
	v_pack_b32_f16 v84, v62, v62
	v_pack_b32_f16 v85, v63, v63
	v_pk_mul_f16 v98, v82, s26
	s_mov_b32 s26, 0x3bb2ba62
	s_mov_b32 s27, 0x3722bacd
	v_pk_add_f16 v100, v101, v100
	v_pk_fma_f16 v101, v81, s25, v97
	v_mul_f16_e32 v61, 0x3b76, v61
	v_mul_f16_e32 v62, 0xb5c8, v62
	v_pk_add_f16 v45, v45, v52
	v_pack_b32_f16 v87, v64, v64
	v_pk_mul_f16 v99, v85, s27
	s_mov_b32 s27, 0x3b29b836
	v_pk_add_f16 v100, v101, v100
	v_pk_fma_f16 v101, v84, s26, v98
	s_mov_b32 s29, 0xb1e1
	v_pk_add_f16 v44, v45, v44
	v_bfi_b32 v45, s28, v62, v51
	v_bfi_b32 v51, s28, v61, v83
	v_pk_mul_f16 v86, v63, s17 op_sel_hi:[0,1]
	v_pk_add_f16 v100, v101, v100
	v_pk_fma_f16 v101, v87, s27, v99
	v_fma_f16 v57, v64, s29, v95
	v_mul_f16_e32 v63, 0x2de8, v63
	v_mul_f16_e32 v64, 0xbbf7, v64
	v_pk_add_f16 v45, v45, v51
	v_pk_add_f16 v100, v101, v100
	v_pack_b32_f16 v101, v18, v18
	v_pk_add_f16 v47, v53, v86
	v_pk_mul_f16 v74, v68, s19
	s_mov_b32 s19, 0x3b76bbdd
	v_pk_add_f16 v44, v45, v44
	v_bfi_b32 v45, s28, v64, v53
	v_bfi_b32 v53, s28, v63, v86
	v_pk_mul_f16 v58, v18, s18 op_sel_hi:[0,1]
	v_pack_b32_f16 v46, v65, v65
	v_mul_f16_e32 v49, 0xbacd, v18
	v_mul_f16_e32 v65, 0xb836, v65
	v_pk_mul_f16 v80, v101, s19
	s_mov_b32 s19, 0x35c8b1e1
	v_pk_add_f16 v45, v45, v53
	v_pk_fma_f16 v51, v46, s19, v80
	v_pk_add_f16 v45, v45, v44
	v_bfi_b32 v44, s28, v65, v1
	v_bfi_b32 v53, s28, v49, v58
	v_pk_add_f16 v53, v44, v53
	v_pk_add_f16 v44, v51, v100
	v_sub_f16_e32 v51, v91, v74
	v_add_f16_e32 v51, v17, v51
	v_add_f16_e32 v17, v17, v16
	;; [unrolled: 1-line block ×3, first 2 shown]
	v_pk_mul_f16 v50, v72, s22
	v_add_f16_e32 v17, v17, v14
	v_pk_mul_f16 v77, v75, s23
	v_pk_add_f16 v45, v53, v45
	v_sub_f16_e32 v53, v92, v50
	v_add_f16_e32 v17, v17, v13
	v_pk_mul_f16 v52, v78, s24
	v_add_f16_e32 v51, v51, v53
	v_sub_f16_e32 v53, v93, v77
	v_add_f16_e32 v17, v17, v12
	v_add_f16_e32 v51, v51, v53
	v_sub_f16_e32 v53, v94, v52
	v_add_f16_e32 v17, v17, v3
	v_add_f16_e32 v51, v53, v51
	v_pk_mul_f16 v53, v81, s25
	v_add_f16_e32 v17, v17, v2
	v_sub_f16_e32 v83, v97, v53
	v_add_f16_e32 v17, v17, v35
	v_add_f16_e32 v51, v83, v51
	v_pk_mul_f16 v83, v84, s26
	;; [unrolled: 5-line block ×4, first 2 shown]
	v_add_f16_e32 v17, v17, v40
	v_sub_f16_e32 v100, v80, v95
	v_add_f16_e32 v17, v17, v41
	v_add_f16_e32 v51, v100, v51
	;; [unrolled: 1-line block ×3, first 2 shown]
	v_mul_u32_u24_e32 v100, 34, v11
	v_add_f16_e32 v17, v43, v17
	v_add3_u32 v100, 0, v100, v8
	v_mul_f16_e32 v18, 0x3722, v18
	ds_write_b16 v100, v17
	v_pack_b32_f16 v17, v47, v96
	v_pack_b32_f16 v18, v90, v18
	s_mov_b32 s19, 0xb1e1b836
	v_pk_add_f16 v17, v17, v18
	v_pk_mul_f16 v18, v68, s19
	s_mov_b32 s19, 0x35c83b29
	v_pk_mul_f16 v68, v72, s19
	s_mov_b32 s19, 0xb836bbf7
	;; [unrolled: 2-line block ×7, first 2 shown]
	v_pk_mul_f16 v87, v46, s19
	v_perm_b32 v1, v57, v1, s9
	v_perm_b32 v46, v88, v58, s9
	v_pk_add_f16 v1, v1, v46
	v_pk_add_f16 v46, v17, v1
	v_pk_fma_f16 v1, v66, s8, v18
	v_pk_add_f16 v1, v69, v1
	v_pk_fma_f16 v17, v70, s15, v68
	;; [unrolled: 2-line block ×8, first 2 shown]
	v_pk_add_f16 v47, v17, v1
	v_pk_fma_f16 v1, v66, s8, v18 neg_lo:[0,0,1] neg_hi:[0,0,1]
	v_pk_add_f16 v1, v69, v1
	v_pk_fma_f16 v17, v70, s15, v68 neg_lo:[0,0,1] neg_hi:[0,0,1]
	;; [unrolled: 2-line block ×8, first 2 shown]
	v_pk_add_f16 v1, v17, v1
	v_bfi_b32 v17, s28, v102, v91
	v_bfi_b32 v18, s28, v48, v74
	ds_write_b128 v100, v[44:47] offset:2
	v_pk_add_f16 v17, v17, v18 neg_lo:[0,1] neg_hi:[0,1]
	v_bfi_b32 v18, s28, v67, v92
	v_bfi_b32 v44, s28, v103, v50
	v_pk_add_f16 v17, v69, v17
	v_pk_add_f16 v18, v18, v44 neg_lo:[0,1] neg_hi:[0,1]
	v_pk_add_f16 v17, v17, v18
	v_bfi_b32 v18, s28, v71, v93
	v_bfi_b32 v44, s28, v54, v77
	v_pk_add_f16 v18, v18, v44 neg_lo:[0,1] neg_hi:[0,1]
	v_pk_add_f16 v17, v17, v18
	v_bfi_b32 v18, s28, v55, v94
	v_bfi_b32 v44, s28, v56, v52
	;; [unrolled: 4-line block ×6, first 2 shown]
	v_pk_add_f16 v18, v18, v44 neg_lo:[0,1] neg_hi:[0,1]
	v_pk_add_f16 v17, v18, v17
	v_alignbit_b32 v47, v51, v17, 16
	v_alignbit_b32 v46, v17, v9, 16
	;; [unrolled: 1-line block ×3, first 2 shown]
	v_perm_b32 v45, v9, v89, s9
	ds_write_b128 v100, v[44:47] offset:18
.LBB0_14:
	s_or_b64 exec, exec, s[0:1]
	v_lshlrev_b32_e32 v1, 1, v11
	v_add3_u32 v18, 0, v8, v1
	v_add_u32_e32 v1, 0, v1
	v_add_u32_e32 v17, v1, v8
	s_waitcnt lgkmcnt(0)
	s_barrier
	ds_read_u16 v44, v17 offset:510
	ds_read_u16 v55, v18
	ds_read_u16 v50, v17 offset:68
	ds_read_u16 v51, v17 offset:136
	;; [unrolled: 1-line block ×10, first 2 shown]
	v_cmp_gt_u32_e64 s[0:1], 17, v11
	s_and_saveexec_b64 s[6:7], s[0:1]
	s_cbranch_execz .LBB0_16
; %bb.15:
	ds_read_u16 v9, v17 offset:408
	ds_read_u16 v56, v17 offset:850
	s_mov_b32 s8, 0x5040100
	s_waitcnt lgkmcnt(0)
	v_perm_b32 v9, v56, v9, s8
.LBB0_16:
	s_or_b64 exec, exec, s[6:7]
	v_sub_f16_e32 v64, v16, v43
	s_mov_b32 s6, 0xbbf7bbb2
	v_add_f16_e32 v63, v19, v34
	v_sub_f16_e32 v62, v15, v42
	v_sub_f16_e32 v60, v14, v41
	s_mov_b32 s8, 0x2de8b461
	v_pk_mul_f16 v14, v64, s6 op_sel_hi:[0,1]
	s_mov_b32 s6, 0xb1e13836
	v_add_f16_e32 v61, v20, v32
	v_sub_f16_e32 v58, v13, v40
	v_sub_f16_e32 v40, v2, v37
	v_pk_fma_f16 v2, v63, s8, v14 op_sel_hi:[0,1,1]
	s_mov_b32 s9, 0xbbddbacd
	v_pk_mul_f16 v15, v62, s6 op_sel_hi:[0,1]
	v_pk_add_f16 v2, v0, v2 op_sel_hi:[0,1]
	v_pk_fma_f16 v16, v61, s9, v15 op_sel_hi:[0,1,1]
	s_mov_b32 s6, 0x3bb23964
	v_add_f16_e32 v59, v21, v33
	v_pk_add_f16 v2, v2, v16
	s_mov_b32 s14, 0xb46139e9
	v_pk_mul_f16 v16, v60, s6 op_sel_hi:[0,1]
	v_sub_f16_e32 v13, v35, v36
	v_pk_fma_f16 v35, v59, s14, v16 op_sel_hi:[0,1,1]
	s_mov_b32 s6, 0x35c8bb29
	v_add_f16_e32 v57, v22, v31
	v_pk_add_f16 v2, v2, v35
	v_pk_mul_f16 v35, v58, s6 op_sel_hi:[0,1]
	v_sub_f16_e32 v56, v12, v39
	v_pk_fma_f16 v36, v57, s15, v35 op_sel_hi:[0,1,1]
	s_mov_b32 s6, 0xbb29b1e1
	v_add_f16_e32 v43, v23, v30
	v_sub_f16_e32 v42, v3, v38
	v_pk_add_f16 v2, v36, v2
	s_mov_b32 s16, 0x3722bbdd
	v_pk_mul_f16 v36, v56, s6 op_sel_hi:[0,1]
	s_mov_b32 s6, 0xb8363bf7
	v_add_f16_e32 v41, v24, v29
	v_pk_fma_f16 v37, v43, s16, v36 op_sel_hi:[0,1,1]
	s_mov_b32 s17, 0xbacd2de8
	v_pk_mul_f16 v38, v42, s6 op_sel_hi:[0,1]
	s_mov_b32 s6, 0x3a62b5c8
	v_add_f16_e32 v3, v25, v28
	v_pk_add_f16 v2, v37, v2
	v_pk_fma_f16 v37, v41, s17, v38 op_sel_hi:[0,1,1]
	s_mov_b32 s18, 0xb8d23b76
	v_pk_mul_f16 v39, v40, s6 op_sel_hi:[0,1]
	v_pk_add_f16 v2, v37, v2
	v_pk_fma_f16 v37, v3, s18, v39 op_sel_hi:[0,1,1]
	s_mov_b32 s6, 0x3964ba62
	v_add_f16_e32 v12, v26, v27
	v_pk_add_f16 v2, v37, v2
	s_mov_b32 s19, 0x39e9b8d2
	v_pk_mul_f16 v37, v13, s6 op_sel_hi:[0,1]
	v_pk_fma_f16 v65, v12, s19, v37 op_sel_hi:[0,1,1]
	v_pk_add_f16 v2, v65, v2
	s_waitcnt lgkmcnt(0)
	s_barrier
	s_and_saveexec_b64 s[6:7], s[2:3]
	s_cbranch_execz .LBB0_18
; %bb.17:
	v_add_f16_e32 v19, v0, v19
	v_add_f16_e32 v19, v19, v20
	;; [unrolled: 1-line block ×13, first 2 shown]
	s_mov_b32 s3, 0xbbdd
	v_mul_f16_e32 v23, 0xb1e1, v64
	v_pk_mul_f16 v82, v63, s8 op_sel_hi:[0,1]
	v_add_f16_e32 v19, v19, v33
	v_fma_f16 v24, v63, s3, -v23
	s_movk_i32 s8, 0x3b76
	v_mul_f16_e32 v28, 0x35c8, v62
	v_add_f16_e32 v19, v32, v19
	v_add_f16_e32 v24, v0, v24
	v_fma_f16 v29, v61, s8, -v28
	s_mov_b32 s8, 0xbacd
	v_mul_f16_e32 v32, 0xb836, v60
	v_pack_b32_f16 v73, v58, v58
	v_pk_mul_f16 v83, v61, s9 op_sel_hi:[0,1]
	v_add_f16_e32 v19, v34, v19
	v_add_f16_e32 v24, v24, v29
	v_fma_f16 v33, v59, s8, -v32
	v_mul_f16_e32 v34, 0x3bb2, v58
	s_movk_i32 s9, 0x39e9
	v_mul_f16_e32 v58, 0x3964, v58
	s_mov_b32 s2, 0x5040100
	v_pack_b32_f16 v70, v59, v59
	v_pack_b32_f16 v71, v60, v60
	;; [unrolled: 1-line block ×4, first 2 shown]
	v_pk_mul_f16 v84, v59, s14 op_sel_hi:[0,1]
	v_pk_mul_f16 v85, v57, s15 op_sel_hi:[0,1]
	s_mov_b32 s3, 0xb8d2
	v_mul_f16_e32 v29, 0xbbdd, v59
	v_mul_f16_e32 v30, 0x31e1, v60
	;; [unrolled: 1-line block ×3, first 2 shown]
	v_add_f16_e32 v24, v24, v33
	v_mul_f16_e32 v33, 0xb461, v57
	v_mul_f16_e32 v59, 0x39e9, v57
	v_fma_f16 v57, v57, s9, -v58
	v_mul_f16_e32 v60, 0x3964, v56
	v_mul_f16_e32 v56, 0xba62, v56
	v_perm_b32 v67, v0, v0, s2
	v_pack_b32_f16 v68, v61, v61
	v_pack_b32_f16 v69, v62, v62
	;; [unrolled: 1-line block ×4, first 2 shown]
	v_pk_mul_f16 v86, v43, s16 op_sel_hi:[0,1]
	s_movk_i32 s2, 0x3722
	v_mul_f16_e32 v25, 0xb8d2, v61
	v_mul_f16_e32 v26, 0xba62, v62
	;; [unrolled: 1-line block ×3, first 2 shown]
	v_add_f16_e32 v24, v57, v24
	v_mul_f16_e32 v57, 0x39e9, v43
	v_mul_f16_e32 v61, 0xb8d2, v43
	v_fma_f16 v43, v43, s3, -v56
	v_mul_f16_e32 v62, 0xb5c8, v42
	v_mul_f16_e32 v42, 0x3b29, v42
	v_pack_b32_f16 v65, v63, v63
	v_pack_b32_f16 v66, v64, v64
	v_pack_b32_f16 v76, v41, v41
	v_pack_b32_f16 v79, v40, v40
	v_pk_mul_f16 v87, v41, s17 op_sel_hi:[0,1]
	v_mul_f16_e32 v20, 0x3722, v63
	v_mul_f16_e32 v21, 0xbb29, v64
	;; [unrolled: 1-line block ×3, first 2 shown]
	s_mov_b32 s8, 0xb461
	v_add_f16_e32 v24, v43, v24
	v_mul_f16_e32 v43, 0x3b76, v41
	v_mul_f16_e32 v63, 0x3722, v41
	v_fma_f16 v41, v41, s2, -v42
	v_mul_f16_e32 v64, 0xbbf7, v40
	v_mul_f16_e32 v40, 0xbbb2, v40
	v_pack_b32_f16 v78, v3, v3
	v_pk_mul_f16 v88, v3, s18 op_sel_hi:[0,1]
	v_add_f16_e32 v24, v41, v24
	v_mul_f16_e32 v41, 0x2de8, v3
	v_mul_f16_e32 v90, 0xb461, v3
	v_fma_f16 v3, v3, s8, -v40
	s_mov_b32 s8, 0xb964b5c8
	s_mov_b32 s3, 0x39e93b76
	v_pk_mul_f16 v91, v66, s8
	v_add_f16_e32 v24, v3, v24
	v_pk_mul_f16 v3, v65, s3
	v_pk_fma_f16 v93, v65, s3, v91 neg_lo:[0,0,1] neg_hi:[0,0,1]
	s_mov_b32 s3, 0x2de839e9
	s_mov_b32 s8, 0xbbf7b964
	v_add_f16_e32 v92, v3, v91
	v_pk_mul_f16 v94, v68, s3
	v_pk_mul_f16 v95, v69, s8
	v_add_f16_e32 v92, v0, v92
	v_add_f16_e32 v96, v94, v95
	v_pk_add_f16 v93, v67, v93
	v_add_f16_e32 v92, v92, v96
	v_pk_fma_f16 v96, v68, s3, v95 neg_lo:[0,0,1] neg_hi:[0,0,1]
	s_mov_b32 s3, 0xb8d23722
	s_mov_b32 s8, 0xba62bb29
	v_pk_add_f16 v93, v93, v96
	v_pk_mul_f16 v96, v70, s3
	v_pk_mul_f16 v97, v71, s8
	v_add_f16_e32 v98, v96, v97
	v_add_f16_e32 v92, v92, v98
	v_pk_fma_f16 v98, v70, s3, v97 neg_lo:[0,0,1] neg_hi:[0,0,1]
	s_mov_b32 s3, 0xbbdd2de8
	s_mov_b32 s8, 0xb1e1bbf7
	v_pk_add_f16 v93, v93, v98
	v_pk_mul_f16 v98, v72, s3
	v_pk_mul_f16 v99, v73, s8
	v_add_f16_e32 v100, v98, v99
	;; [unrolled: 8-line block ×4, first 2 shown]
	v_add_f16_e32 v92, v104, v92
	v_pk_fma_f16 v104, v76, s3, v103 neg_lo:[0,0,1] neg_hi:[0,0,1]
	s_mov_b32 s3, 0x3722bacd
	s_mov_b32 s8, 0x3b29b836
	v_pk_add_f16 v93, v104, v93
	v_pk_mul_f16 v104, v78, s3
	v_pk_mul_f16 v105, v79, s8
	v_pack_b32_f16 v81, v13, v13
	v_add_f16_e32 v106, v104, v105
	s_mov_b32 s8, 0x35c8b1e1
	v_pack_b32_f16 v80, v12, v12
	v_add_f16_e32 v92, v106, v92
	v_pk_fma_f16 v106, v78, s3, v105 neg_lo:[0,0,1] neg_hi:[0,0,1]
	s_mov_b32 s3, 0x3b76bbdd
	v_pk_mul_f16 v107, v81, s8
	v_pk_add_f16 v93, v106, v93
	v_pk_mul_f16 v106, v80, s3
	v_pk_fma_f16 v108, v80, s3, v107 neg_lo:[0,0,1] neg_hi:[0,0,1]
	s_mov_b32 s3, 0xffff
	v_bfi_b32 v3, s3, v20, v3
	v_bfi_b32 v91, s3, v21, v91
	v_pk_add_f16 v3, v3, v91
	v_bfi_b32 v91, s3, v25, v94
	v_bfi_b32 v94, s3, v26, v95
	v_pk_add_f16 v3, v67, v3
	v_pk_add_f16 v91, v91, v94
	v_pk_add_f16 v3, v3, v91
	v_bfi_b32 v91, s3, v29, v96
	v_bfi_b32 v94, s3, v30, v97
	v_pk_add_f16 v91, v91, v94
	v_pk_add_f16 v3, v3, v91
	v_bfi_b32 v91, s3, v33, v98
	v_bfi_b32 v94, s3, v34, v99
	v_pk_add_f16 v91, v91, v94
	v_pk_add_f16 v3, v91, v3
	;; [unrolled: 4-line block ×3, first 2 shown]
	v_bfi_b32 v91, s3, v43, v102
	v_bfi_b32 v94, s3, v62, v103
	v_pk_add_f16 v91, v91, v94
	v_add_f16_e32 v109, v106, v107
	v_pk_add_f16 v3, v91, v3
	v_bfi_b32 v91, s3, v41, v104
	v_bfi_b32 v94, s3, v64, v105
	v_add_f16_e32 v92, v109, v92
	v_pk_add_f16 v93, v108, v93
	v_mul_f16_e32 v108, 0xbacd, v12
	v_mul_f16_e32 v109, 0xb836, v13
	v_pk_add_f16 v91, v91, v94
	v_pk_add_f16 v3, v91, v3
	v_bfi_b32 v91, s3, v108, v106
	v_bfi_b32 v94, s3, v109, v107
	v_pk_add_f16 v91, v91, v94
	v_pk_add_f16 v3, v91, v3
	v_sub_f16_e32 v91, v82, v14
	v_bfi_b32 v20, s3, v20, v82
	v_bfi_b32 v14, s3, v21, v14
	v_sub_f16_e32 v94, v83, v15
	v_pk_add_f16 v14, v20, v14 neg_lo:[0,1] neg_hi:[0,1]
	v_bfi_b32 v20, s3, v25, v83
	v_bfi_b32 v15, s3, v26, v15
	v_add_f16_e32 v91, v0, v91
	v_pk_add_f16 v14, v67, v14
	v_pk_add_f16 v15, v20, v15 neg_lo:[0,1] neg_hi:[0,1]
	v_add_f16_e32 v91, v91, v94
	v_sub_f16_e32 v94, v84, v16
	v_pk_add_f16 v14, v14, v15
	v_bfi_b32 v15, s3, v29, v84
	v_bfi_b32 v16, s3, v30, v16
	v_pk_add_f16 v15, v15, v16 neg_lo:[0,1] neg_hi:[0,1]
	v_pk_add_f16 v14, v14, v15
	v_bfi_b32 v15, s3, v33, v85
	v_bfi_b32 v16, s3, v34, v35
	v_pk_add_f16 v15, v15, v16 neg_lo:[0,1] neg_hi:[0,1]
	;; [unrolled: 4-line block ×4, first 2 shown]
	v_pk_add_f16 v14, v15, v14
	v_bfi_b32 v15, s3, v41, v88
	v_bfi_b32 v16, s3, v64, v39
	v_pk_mul_f16 v89, v12, s19 op_sel_hi:[0,1]
	v_pk_add_f16 v15, v15, v16 neg_lo:[0,1] neg_hi:[0,1]
	v_pk_add_f16 v14, v15, v14
	v_bfi_b32 v15, s3, v108, v89
	v_bfi_b32 v16, s3, v109, v37
	s_mov_b32 s8, 0xbacdb8d2
	s_mov_b32 s9, 0xb836ba62
	v_pk_add_f16 v15, v15, v16 neg_lo:[0,1] neg_hi:[0,1]
	v_pk_mul_f16 v20, v65, s8
	v_pk_mul_f16 v21, v66, s9
	v_pk_add_f16 v16, v15, v14
	v_add_f16_e32 v15, v20, v21
	v_add_f16_e32 v0, v0, v15
	v_pk_fma_f16 v15, v65, s8, v21 neg_lo:[0,0,1] neg_hi:[0,0,1]
	s_mov_b32 s8, 0x3722b461
	s_mov_b32 s9, 0x3b293bb2
	v_pk_mul_f16 v25, v68, s8
	v_pk_mul_f16 v26, v69, s9
	v_add_f16_e32 v29, v25, v26
	v_pk_add_f16 v15, v67, v15
	v_add_f16_e32 v0, v0, v29
	v_pk_fma_f16 v29, v68, s8, v26 neg_lo:[0,0,1] neg_hi:[0,0,1]
	s_mov_b32 s8, 0x2de83b76
	s_mov_b32 s9, 0xbbf7b5c8
	v_pk_add_f16 v15, v15, v29
	v_pk_mul_f16 v29, v70, s8
	v_pk_mul_f16 v30, v71, s9
	v_add_f16_e32 v33, v29, v30
	v_add_f16_e32 v0, v0, v33
	v_pk_fma_f16 v33, v70, s8, v30 neg_lo:[0,0,1] neg_hi:[0,0,1]
	s_mov_b32 s8, 0xb8d2bacd
	s_mov_b32 s9, 0x3a62b836
	v_pk_add_f16 v15, v15, v33
	v_pk_mul_f16 v33, v72, s8
	v_pk_mul_f16 v34, v73, s9
	v_add_f16_e32 v91, v91, v94
	v_sub_f16_e32 v94, v85, v35
	v_add_f16_e32 v35, v33, v34
	v_add_f16_e32 v0, v35, v0
	v_pk_fma_f16 v35, v72, s8, v34 neg_lo:[0,0,1] neg_hi:[0,0,1]
	s_mov_b32 s8, 0x3b762de8
	s_mov_b32 s9, 0xb5c83bf7
	v_add_f16_e32 v91, v94, v91
	v_sub_f16_e32 v94, v86, v36
	v_pk_add_f16 v15, v35, v15
	v_pk_mul_f16 v35, v74, s8
	v_pk_mul_f16 v36, v75, s9
	v_sub_f16_e32 v14, v89, v37
	v_add_f16_e32 v37, v35, v36
	v_add_f16_e32 v0, v37, v0
	v_pk_fma_f16 v37, v74, s8, v36 neg_lo:[0,0,1] neg_hi:[0,0,1]
	s_mov_b32 s8, 0xbbdd39e9
	s_mov_b32 s9, 0xb1e1b964
	v_add_f16_e32 v91, v94, v91
	v_sub_f16_e32 v94, v87, v38
	v_pk_add_f16 v15, v37, v15
	v_pk_mul_f16 v37, v76, s8
	v_pk_mul_f16 v38, v77, s9
	v_add_f16_e32 v91, v94, v91
	v_sub_f16_e32 v94, v88, v39
	v_add_f16_e32 v39, v37, v38
	v_add_f16_e32 v0, v39, v0
	v_pk_fma_f16 v39, v76, s8, v38 neg_lo:[0,0,1] neg_hi:[0,0,1]
	s_mov_b32 s8, 0x39e9bbdd
	s_mov_b32 s9, 0x3964b1e1
	v_pk_add_f16 v15, v39, v15
	v_pk_mul_f16 v39, v78, s8
	v_pk_mul_f16 v41, v79, s9
	v_add_f16_e32 v43, v39, v41
	s_mov_b32 s9, 0xbbb23b29
	v_add_f16_e32 v0, v43, v0
	v_pk_fma_f16 v43, v78, s8, v41 neg_lo:[0,0,1] neg_hi:[0,0,1]
	s_mov_b32 s8, 0xb4613722
	v_pk_mul_f16 v57, v81, s9
	s_movk_i32 s2, 0x2de8
	v_pk_add_f16 v15, v43, v15
	v_pk_fma_f16 v60, v80, s8, v57 neg_lo:[0,0,1] neg_hi:[0,0,1]
	v_mul_f16_e32 v13, 0x3bf7, v13
	v_pk_add_f16 v15, v60, v15
	v_mul_f16_e32 v60, 0x2de8, v12
	v_fma_f16 v12, v12, s2, -v13
	v_add_f16_e32 v24, v12, v24
	v_bfi_b32 v12, s3, v22, v20
	v_bfi_b32 v20, s3, v23, v21
	v_pk_add_f16 v12, v12, v20
	v_bfi_b32 v20, s3, v27, v25
	v_bfi_b32 v21, s3, v28, v26
	v_pk_add_f16 v12, v67, v12
	v_pk_add_f16 v20, v20, v21
	;; [unrolled: 1-line block ×3, first 2 shown]
	v_bfi_b32 v20, s3, v31, v29
	v_bfi_b32 v21, s3, v32, v30
	v_pk_add_f16 v20, v20, v21
	v_pk_add_f16 v12, v12, v20
	v_bfi_b32 v20, s3, v59, v33
	v_bfi_b32 v21, s3, v58, v34
	v_pk_add_f16 v20, v20, v21
	v_pk_add_f16 v12, v20, v12
	;; [unrolled: 4-line block ×4, first 2 shown]
	v_bfi_b32 v20, s3, v90, v39
	v_bfi_b32 v21, s3, v40, v41
	v_pk_mul_f16 v43, v80, s8
	v_pk_add_f16 v20, v20, v21
	v_pk_add_f16 v12, v20, v12
	v_bfi_b32 v20, s3, v60, v43
	v_bfi_b32 v13, s3, v13, v57
	v_add_f16_e32 v91, v94, v91
	v_add_f16_e32 v62, v43, v57
	v_pk_add_f16 v13, v20, v13
	v_add_f16_e32 v14, v14, v91
	v_add_f16_e32 v0, v62, v0
	v_pk_add_f16 v20, v13, v12
	v_lshlrev_b32_e32 v12, 5, v11
	v_add3_u32 v21, v1, v12, v8
	v_alignbit_b32 v14, v14, v16, 16
	v_alignbit_b32 v13, v16, v93, 16
	v_pack_b32_f16 v12, v19, v93
	v_alignbit_b32 v1, v0, v20, 16
	v_pack_b32_f16 v0, v24, v20
	ds_write_b128 v21, v[12:15]
	ds_write_b128 v21, v[0:3] offset:16
	ds_write_b16 v21, v92 offset:32
.LBB0_18:
	s_or_b64 exec, exec, s[6:7]
	s_waitcnt lgkmcnt(0)
	s_barrier
	ds_read_u16 v15, v17 offset:510
	ds_read_u16 v14, v18
	ds_read_u16 v12, v17 offset:68
	ds_read_u16 v0, v17 offset:136
	;; [unrolled: 1-line block ×10, first 2 shown]
	s_and_saveexec_b64 s[2:3], s[0:1]
	s_cbranch_execz .LBB0_20
; %bb.19:
	ds_read_u16 v2, v17 offset:408
	ds_read_u16 v23, v17 offset:850
	s_mov_b32 s6, 0x5040100
	s_waitcnt lgkmcnt(0)
	v_perm_b32 v2, v23, v2, s6
.LBB0_20:
	s_or_b64 exec, exec, s[2:3]
	v_subrev_u32_e32 v23, 17, v11
	v_cndmask_b32_e64 v33, v23, v11, s[0:1]
	v_mov_b32_e32 v34, 0
	v_lshlrev_b64 v[23:24], 2, v[33:34]
	v_mov_b32_e32 v25, s13
	v_add_co_u32_e64 v23, s[2:3], s12, v23
	v_addc_co_u32_e64 v24, s[2:3], v25, v24, s[2:3]
	s_movk_i32 s2, 0xf1
	v_add_u16_e32 v27, 0x44, v11
	v_mul_lo_u16_sdwa v28, v27, s2 dst_sel:DWORD dst_unused:UNUSED_PAD src0_sel:BYTE_0 src1_sel:DWORD
	v_lshrrev_b16_e32 v36, 12, v28
	v_mul_lo_u16_e32 v28, 17, v36
	v_sub_u16_e32 v37, v27, v28
	v_add_u16_e32 v28, 0x66, v11
	v_mul_lo_u16_sdwa v29, v28, s2 dst_sel:DWORD dst_unused:UNUSED_PAD src0_sel:BYTE_0 src1_sel:DWORD
	v_lshrrev_b16_e32 v38, 12, v29
	v_mul_lo_u16_e32 v29, 17, v38
	v_sub_u16_e32 v40, v28, v29
	v_add_u16_e32 v29, 0x88, v11
	v_mul_lo_u16_sdwa v30, v29, s2 dst_sel:DWORD dst_unused:UNUSED_PAD src0_sel:BYTE_0 src1_sel:DWORD
	v_lshrrev_b16_e32 v41, 12, v30
	v_add_u16_e32 v25, 34, v11
	v_mul_lo_u16_e32 v30, 17, v41
	v_mul_lo_u16_sdwa v26, v25, s2 dst_sel:DWORD dst_unused:UNUSED_PAD src0_sel:BYTE_0 src1_sel:DWORD
	v_sub_u16_e32 v42, v29, v30
	v_add_u16_e32 v29, 0xaa, v11
	global_load_dword v31, v[23:24], off
	v_lshrrev_b16_e32 v34, 12, v26
	v_mul_lo_u16_sdwa v30, v29, s2 dst_sel:DWORD dst_unused:UNUSED_PAD src0_sel:BYTE_0 src1_sel:DWORD
	v_mul_lo_u16_e32 v26, 17, v34
	v_lshrrev_b16_e32 v43, 12, v30
	v_sub_u16_e32 v35, v25, v26
	v_mov_b32_e32 v26, 2
	v_mul_lo_u16_e32 v30, 17, v43
	v_lshlrev_b32_sdwa v25, v26, v35 dst_sel:DWORD dst_unused:UNUSED_PAD src0_sel:DWORD src1_sel:BYTE_0
	v_sub_u16_e32 v56, v29, v30
	v_lshlrev_b32_sdwa v27, v26, v37 dst_sel:DWORD dst_unused:UNUSED_PAD src0_sel:DWORD src1_sel:BYTE_0
	v_lshlrev_b32_sdwa v28, v26, v40 dst_sel:DWORD dst_unused:UNUSED_PAD src0_sel:DWORD src1_sel:BYTE_0
	;; [unrolled: 1-line block ×4, first 2 shown]
	global_load_dword v32, v25, s[12:13]
	global_load_dword v30, v27, s[12:13]
	global_load_dword v29, v28, s[12:13]
	global_load_dword v24, v39, s[12:13]
	global_load_dword v23, v57, s[12:13]
	v_add_u16_e32 v25, 0xcc, v11
	v_mul_lo_u16_sdwa v27, v25, s2 dst_sel:DWORD dst_unused:UNUSED_PAD src0_sel:BYTE_0 src1_sel:DWORD
	v_lshrrev_b16_e32 v27, 12, v27
	v_mul_lo_u16_e32 v27, 17, v27
	v_sub_u16_e32 v25, v25, v27
	v_lshlrev_b32_sdwa v26, v26, v25 dst_sel:DWORD dst_unused:UNUSED_PAD src0_sel:DWORD src1_sel:BYTE_0
	global_load_dword v26, v26, s[12:13]
	v_mov_b32_e32 v39, 0x44
	v_cmp_lt_u32_e64 s[2:3], 16, v11
	v_cndmask_b32_e64 v39, 0, v39, s[2:3]
	v_add_u32_e32 v39, 0, v39
	v_lshlrev_b32_e32 v33, 1, v33
	v_add3_u32 v33, v39, v33, v8
	s_movk_i32 s6, 0x44
	s_waitcnt vmcnt(0) lgkmcnt(0)
	s_barrier
	v_mad_u32_u24 v34, v34, s6, 0
	v_lshrrev_b32_e32 v27, 16, v2
	v_lshrrev_b32_e32 v28, 16, v9
	v_mul_f16_sdwa v39, v22, v31 dst_sel:DWORD dst_unused:UNUSED_PAD src0_sel:DWORD src1_sel:WORD_1
	v_fma_f16 v39, v49, v31, v39
	v_sub_f16_e32 v39, v55, v39
	v_fma_f16 v55, v55, 2.0, -v39
	ds_write_b16 v33, v55
	ds_write_b16 v33, v39 offset:34
	v_mov_b32_e32 v39, 1
	v_lshlrev_b32_sdwa v35, v39, v35 dst_sel:DWORD dst_unused:UNUSED_PAD src0_sel:DWORD src1_sel:BYTE_0
	v_add3_u32 v34, v34, v35, v8
	v_mad_u32_u24 v35, v36, s6, 0
	v_lshlrev_b32_sdwa v36, v39, v37 dst_sel:DWORD dst_unused:UNUSED_PAD src0_sel:DWORD src1_sel:BYTE_0
	v_mul_f16_sdwa v57, v15, v32 dst_sel:DWORD dst_unused:UNUSED_PAD src0_sel:DWORD src1_sel:WORD_1
	v_mul_f16_sdwa v58, v21, v30 dst_sel:DWORD dst_unused:UNUSED_PAD src0_sel:DWORD src1_sel:WORD_1
	;; [unrolled: 1-line block ×5, first 2 shown]
	v_add3_u32 v35, v35, v36, v8
	v_mad_u32_u24 v36, v38, s6, 0
	v_lshlrev_b32_sdwa v37, v39, v40 dst_sel:DWORD dst_unused:UNUSED_PAD src0_sel:DWORD src1_sel:BYTE_0
	v_fma_f16 v57, v44, v32, v57
	v_fma_f16 v58, v48, v30, v58
	;; [unrolled: 1-line block ×5, first 2 shown]
	v_add3_u32 v36, v36, v37, v8
	v_mad_u32_u24 v37, v41, s6, 0
	v_lshlrev_b32_sdwa v38, v39, v42 dst_sel:DWORD dst_unused:UNUSED_PAD src0_sel:DWORD src1_sel:BYTE_0
	v_sub_f16_e32 v57, v50, v57
	v_sub_f16_e32 v58, v51, v58
	;; [unrolled: 1-line block ×5, first 2 shown]
	v_add3_u32 v37, v37, v38, v8
	v_mad_u32_u24 v38, v43, s6, 0
	v_lshlrev_b32_sdwa v40, v39, v56 dst_sel:DWORD dst_unused:UNUSED_PAD src0_sel:DWORD src1_sel:BYTE_0
	v_fma_f16 v50, v50, 2.0, -v57
	v_fma_f16 v51, v51, 2.0, -v58
	;; [unrolled: 1-line block ×5, first 2 shown]
	v_add3_u32 v38, v38, v40, v8
	ds_write_b16 v34, v50
	ds_write_b16 v34, v57 offset:34
	ds_write_b16 v35, v51
	ds_write_b16 v35, v58 offset:34
	;; [unrolled: 2-line block ×5, first 2 shown]
	s_and_saveexec_b64 s[2:3], s[0:1]
	s_cbranch_execz .LBB0_22
; %bb.21:
	v_mul_f16_sdwa v40, v27, v26 dst_sel:DWORD dst_unused:UNUSED_PAD src0_sel:DWORD src1_sel:WORD_1
	v_fma_f16 v40, v28, v26, v40
	v_sub_f16_e32 v40, v9, v40
	v_lshlrev_b32_sdwa v39, v39, v25 dst_sel:DWORD dst_unused:UNUSED_PAD src0_sel:DWORD src1_sel:BYTE_0
	v_fma_f16 v9, v9, 2.0, -v40
	v_add3_u32 v39, 0, v39, v8
	ds_write_b16 v39, v9 offset:816
	ds_write_b16 v39, v40 offset:850
.LBB0_22:
	s_or_b64 exec, exec, s[2:3]
	v_mul_f16_sdwa v9, v49, v31 dst_sel:DWORD dst_unused:UNUSED_PAD src0_sel:DWORD src1_sel:WORD_1
	v_fma_f16 v9, v22, v31, -v9
	v_mul_f16_sdwa v22, v44, v32 dst_sel:DWORD dst_unused:UNUSED_PAD src0_sel:DWORD src1_sel:WORD_1
	v_fma_f16 v15, v15, v32, -v22
	;; [unrolled: 2-line block ×6, first 2 shown]
	v_sub_f16_e32 v29, v14, v9
	v_sub_f16_e32 v31, v12, v15
	;; [unrolled: 1-line block ×4, first 2 shown]
	v_fma_f16 v30, v14, 2.0, -v29
	v_fma_f16 v32, v12, 2.0, -v31
	v_sub_f16_e32 v39, v0, v21
	v_sub_f16_e32 v40, v1, v20
	v_fma_f16 v42, v3, 2.0, -v41
	v_fma_f16 v44, v13, 2.0, -v43
	s_waitcnt lgkmcnt(0)
	s_barrier
	ds_read_u16 v3, v18
	ds_read_u16 v21, v17 offset:68
	ds_read_u16 v19, v17 offset:136
	;; [unrolled: 1-line block ×12, first 2 shown]
	v_fma_f16 v0, v0, 2.0, -v39
	v_fma_f16 v1, v1, 2.0, -v40
	s_waitcnt lgkmcnt(0)
	s_barrier
	ds_write_b16 v33, v30
	ds_write_b16 v33, v29 offset:34
	ds_write_b16 v34, v32
	ds_write_b16 v34, v31 offset:34
	;; [unrolled: 2-line block ×6, first 2 shown]
	s_and_saveexec_b64 s[2:3], s[0:1]
	s_cbranch_execz .LBB0_24
; %bb.23:
	v_mul_f16_sdwa v0, v28, v26 dst_sel:DWORD dst_unused:UNUSED_PAD src0_sel:DWORD src1_sel:WORD_1
	v_fma_f16 v0, v27, v26, -v0
	v_sub_f16_e32 v0, v2, v0
	v_fma_f16 v1, v2, 2.0, -v0
	v_mov_b32_e32 v2, 1
	v_lshlrev_b32_sdwa v2, v2, v25 dst_sel:DWORD dst_unused:UNUSED_PAD src0_sel:DWORD src1_sel:BYTE_0
	v_add3_u32 v2, 0, v2, v8
	ds_write_b16 v2, v1 offset:816
	ds_write_b16 v2, v0 offset:850
.LBB0_24:
	s_or_b64 exec, exec, s[2:3]
	s_waitcnt lgkmcnt(0)
	s_barrier
	s_and_saveexec_b64 s[0:1], vcc
	s_cbranch_execz .LBB0_26
; %bb.25:
	v_mul_u32_u24_e32 v0, 12, v11
	v_lshlrev_b32_e32 v0, 2, v0
	global_load_dwordx4 v[25:28], v0, s[12:13] offset:68
	global_load_dwordx4 v[29:32], v0, s[12:13] offset:100
	;; [unrolled: 1-line block ×3, first 2 shown]
	v_mul_lo_u32 v2, s5, v6
	v_mul_lo_u32 v7, s4, v7
	v_mad_u64_u32 v[0:1], s[0:1], s4, v6, 0
	ds_read_u16 v6, v17 offset:204
	ds_read_u16 v8, v17 offset:272
	;; [unrolled: 1-line block ×7, first 2 shown]
	ds_read_u16 v18, v18
	ds_read_u16 v41, v17 offset:816
	ds_read_u16 v42, v17 offset:748
	;; [unrolled: 1-line block ×5, first 2 shown]
	v_add3_u32 v1, v1, v7, v2
	s_movk_i32 s0, 0x3b15
	s_movk_i32 s3, 0x388b
	;; [unrolled: 1-line block ×3, first 2 shown]
	s_mov_b32 s1, 0xb5ac
	s_mov_b32 s4, 0xb9fd
	;; [unrolled: 1-line block ×3, first 2 shown]
	v_lshlrev_b64 v[0:1], 2, v[0:1]
	s_waitcnt vmcnt(2)
	v_lshrrev_b32_e32 v2, 16, v25
	v_mul_f16_e32 v47, v21, v25
	s_waitcnt vmcnt(1)
	v_lshrrev_b32_e32 v51, 16, v32
	v_mul_f16_e32 v52, v24, v32
	v_lshrrev_b32_e32 v7, 16, v26
	v_lshrrev_b32_e32 v45, 16, v27
	;; [unrolled: 1-line block ×5, first 2 shown]
	v_mul_f16_e32 v53, v19, v26
	v_mul_f16_e32 v54, v23, v31
	;; [unrolled: 1-line block ×4, first 2 shown]
	s_waitcnt lgkmcnt(6)
	v_fma_f16 v47, v40, v2, v47
	s_waitcnt lgkmcnt(4)
	v_fma_f16 v52, v41, v51, v52
	v_mul_f16_e32 v24, v24, v51
	v_mul_f16_e32 v2, v21, v2
	v_lshrrev_b32_e32 v49, 16, v30
	v_mul_f16_e32 v58, v20, v29
	v_fma_f16 v21, v39, v7, v53
	s_waitcnt lgkmcnt(3)
	v_fma_f16 v51, v42, v50, v54
	v_mul_f16_e32 v23, v23, v50
	v_mul_f16_e32 v7, v19, v7
	v_fma_f16 v19, v6, v45, v55
	v_mul_f16_e32 v16, v16, v45
	v_fma_f16 v45, v8, v46, v57
	v_mul_f16_e32 v20, v20, v48
	v_mul_f16_e32 v15, v15, v46
	v_sub_f16_e32 v46, v47, v52
	v_fma_f16 v24, v41, v32, -v24
	v_fma_f16 v25, v40, v25, -v2
	v_mul_f16_e32 v56, v22, v30
	v_mul_f16_e32 v22, v22, v49
	v_sub_f16_e32 v32, v21, v51
	v_fma_f16 v23, v42, v31, -v23
	v_fma_f16 v26, v39, v26, -v7
	s_waitcnt lgkmcnt(1)
	v_fma_f16 v20, v44, v29, -v20
	v_fma_f16 v15, v8, v28, -v15
	v_mul_f16_e32 v28, 0xb770, v46
	v_add_f16_e32 v29, v25, v24
	v_fma_f16 v22, v43, v30, -v22
	v_mul_f16_e32 v30, 0xba95, v32
	v_add_f16_e32 v39, v26, v23
	v_fma_f16 v2, v29, s0, v28
	v_fma_f16 v16, v6, v27, -v16
	v_fma_f16 v6, v39, s3, v30
	v_add_f16_e32 v2, v18, v2
	s_waitcnt vmcnt(0)
	v_lshrrev_b32_e32 v59, 16, v33
	v_add_f16_e32 v2, v2, v6
	v_mul_f16_e32 v6, v13, v33
	v_lshrrev_b32_e32 v62, 16, v36
	v_fma_f16 v50, v43, v49, v56
	v_fma_f16 v49, v44, v48, v58
	;; [unrolled: 1-line block ×3, first 2 shown]
	v_mul_f16_e32 v6, v14, v36
	v_sub_f16_e32 v31, v19, v50
	s_waitcnt lgkmcnt(0)
	v_fma_f16 v48, v17, v62, v6
	v_mul_f16_e32 v6, v14, v62
	v_sub_f16_e32 v27, v45, v49
	v_mul_f16_e32 v40, 0xbbf1, v31
	v_add_f16_e32 v41, v16, v22
	v_fma_f16 v14, v17, v36, -v6
	v_mul_f16_e32 v6, v13, v59
	v_mul_f16_e32 v42, 0xbb7b, v27
	v_add_f16_e32 v43, v15, v20
	v_fma_f16 v7, v41, s2, v40
	v_sub_f16_e32 v53, v44, v48
	v_fma_f16 v11, v11, v33, -v6
	v_fma_f16 v8, v43, s1, v42
	v_add_f16_e32 v2, v2, v7
	v_mul_f16_e32 v54, 0xb94e, v53
	v_add_f16_e32 v13, v11, v14
	v_add_f16_e32 v2, v2, v8
	v_fma_f16 v6, v13, s4, v54
	v_lshrrev_b32_e32 v60, 16, v34
	v_add_f16_e32 v2, v2, v6
	v_mul_f16_e32 v6, v9, v34
	v_lshrrev_b32_e32 v61, 16, v35
	v_fma_f16 v17, v37, v60, v6
	v_mul_f16_e32 v6, v12, v35
	v_fma_f16 v33, v38, v61, v6
	v_mul_f16_e32 v6, v12, v61
	v_fma_f16 v35, v38, v35, -v6
	v_mul_f16_e32 v6, v9, v60
	v_sub_f16_e32 v36, v17, v33
	v_fma_f16 v9, v37, v34, -v6
	v_mul_f16_e32 v55, 0xb3a8, v36
	v_add_f16_e32 v12, v9, v35
	v_sub_f16_e32 v37, v25, v24
	v_fma_f16 v6, v12, s5, v55
	v_add_f16_e32 v34, v47, v52
	v_mul_f16_e32 v38, 0xb770, v37
	v_sub_f16_e32 v57, v26, v23
	v_add_f16_e32 v2, v2, v6
	v_fma_f16 v6, v34, s0, -v38
	v_add_f16_e32 v56, v21, v51
	v_mul_f16_e32 v58, 0xba95, v57
	v_sub_f16_e32 v60, v16, v22
	v_add_f16_e32 v6, v3, v6
	v_fma_f16 v7, v56, s3, -v58
	;; [unrolled: 5-line block ×5, first 2 shown]
	v_add_f16_e32 v68, v17, v33
	v_mul_f16_e32 v70, 0xb3a8, v69
	v_add_f16_e32 v6, v6, v7
	v_fma_f16 v7, v68, s5, -v70
	v_mul_f16_e32 v71, 0xba95, v46
	v_add_f16_e32 v6, v6, v7
	v_fma_f16 v7, v29, s3, v71
	v_mul_f16_e32 v72, 0xbb7b, v32
	v_add_f16_e32 v7, v18, v7
	v_fma_f16 v8, v39, s1, v72
	;; [unrolled: 3-line block ×6, first 2 shown]
	v_mul_f16_e32 v77, 0xba95, v37
	v_add_f16_e32 v7, v7, v8
	v_fma_f16 v8, v34, s3, -v77
	v_mul_f16_e32 v78, 0xbb7b, v57
	v_add_f16_e32 v8, v3, v8
	v_fma_f16 v79, v56, s1, -v78
	v_add_f16_e32 v8, v8, v79
	v_mul_f16_e32 v79, 0xb3a8, v60
	v_fma_f16 v80, v59, s5, -v79
	v_add_f16_e32 v8, v8, v80
	v_mul_f16_e32 v80, 0x394e, v63
	v_fma_f16 v81, v62, s4, -v80
	v_add_f16_e32 v8, v8, v81
	v_mul_f16_e32 v81, 0x3bf1, v66
	v_fma_f16 v82, v65, s2, -v81
	v_add_f16_e32 v8, v8, v82
	v_mul_f16_e32 v82, 0x3770, v69
	v_fma_f16 v83, v68, s0, -v82
	v_add_f16_e32 v8, v8, v83
	v_mul_f16_e32 v83, 0xbbf1, v46
	v_fma_f16 v84, v29, s2, v83
	v_mul_f16_e32 v85, 0xb3a8, v32
	v_add_f16_e32 v84, v18, v84
	v_fma_f16 v86, v39, s5, v85
	v_add_f16_e32 v84, v84, v86
	v_mul_f16_e32 v86, 0x3b7b, v31
	v_fma_f16 v87, v41, s1, v86
	v_add_f16_e32 v84, v84, v87
	v_mul_f16_e32 v87, 0x3770, v27
	v_fma_f16 v88, v43, s0, v87
	v_add_f16_e32 v84, v84, v88
	v_mul_f16_e32 v88, 0xba95, v53
	v_fma_f16 v89, v13, s3, v88
	v_add_f16_e32 v84, v84, v89
	v_mul_f16_e32 v89, 0xb94e, v36
	v_fma_f16 v90, v12, s4, v89
	v_add_f16_e32 v84, v84, v90
	v_mul_f16_e32 v90, 0xbbf1, v37
	v_fma_f16 v91, v34, s2, -v90
	v_mul_f16_e32 v92, 0xb3a8, v57
	v_add_f16_e32 v91, v3, v91
	v_fma_f16 v93, v56, s5, -v92
	v_add_f16_e32 v91, v91, v93
	v_mul_f16_e32 v93, 0x3b7b, v60
	v_fma_f16 v94, v59, s1, -v93
	v_add_f16_e32 v91, v91, v94
	v_mul_f16_e32 v94, 0x3770, v63
	v_fma_f16 v95, v62, s0, -v94
	v_add_f16_e32 v91, v91, v95
	v_mul_f16_e32 v95, 0xba95, v66
	v_fma_f16 v96, v65, s3, -v95
	v_add_f16_e32 v91, v91, v96
	v_mul_f16_e32 v96, 0xb94e, v69
	v_fma_f16 v97, v68, s4, -v96
	v_add_f16_e32 v91, v91, v97
	v_mul_f16_e32 v97, 0xbb7b, v46
	v_fma_f16 v98, v29, s1, v97
	v_mul_f16_e32 v99, 0x394e, v32
	v_add_f16_e32 v98, v18, v98
	v_fma_f16 v100, v39, s4, v99
	v_add_f16_e32 v98, v98, v100
	v_mul_f16_e32 v100, 0x3770, v31
	v_fma_f16 v101, v41, s0, v100
	v_add_f16_e32 v98, v98, v101
	v_mul_f16_e32 v101, 0xbbf1, v27
	v_fma_f16 v102, v43, s2, v101
	v_add_f16_e32 v98, v98, v102
	v_mul_f16_e32 v102, 0x33a8, v53
	v_fma_f16 v103, v13, s5, v102
	v_add_f16_e32 v98, v98, v103
	v_mul_f16_e32 v103, 0x3a95, v36
	v_fma_f16 v104, v12, s3, v103
	v_add_f16_e32 v98, v98, v104
	v_mul_f16_e32 v104, 0xbb7b, v37
	;; [unrolled: 36-line block ×3, first 2 shown]
	v_fma_f16 v119, v34, s4, -v118
	v_mul_f16_e32 v120, 0x3bf1, v57
	v_add_f16_e32 v119, v3, v119
	v_fma_f16 v121, v56, s2, -v120
	v_add_f16_e32 v119, v119, v121
	v_mul_f16_e32 v121, 0xba95, v60
	v_fma_f16 v122, v59, s3, -v121
	v_add_f16_e32 v119, v119, v122
	v_mul_f16_e32 v122, 0x33a8, v63
	;; [unrolled: 3-line block ×4, first 2 shown]
	v_fma_f16 v125, v68, s1, -v124
	v_mul_f16_e32 v46, 0xb3a8, v46
	v_add_f16_e32 v119, v119, v125
	v_fma_f16 v125, v29, s5, v46
	v_mul_f16_e32 v32, 0x3770, v32
	v_fma_f16 v46, v29, s5, -v46
	v_add_f16_e32 v125, v18, v125
	v_fma_f16 v126, v39, s0, v32
	v_mul_f16_e32 v31, 0xb94e, v31
	v_add_f16_e32 v46, v18, v46
	v_fma_f16 v32, v39, s0, -v32
	v_add_f16_e32 v125, v125, v126
	v_fma_f16 v126, v41, s4, v31
	v_mul_f16_e32 v27, 0x3a95, v27
	v_add_f16_e32 v32, v46, v32
	;; [unrolled: 5-line block ×3, first 2 shown]
	v_fma_f16 v27, v43, s3, -v27
	v_mul_f16_e32 v36, 0x3bf1, v36
	v_add_f16_e32 v27, v31, v27
	v_fma_f16 v31, v13, s1, -v53
	v_mul_f16_e32 v37, 0xb3a8, v37
	v_add_f16_e32 v27, v27, v31
	;; [unrolled: 3-line block ×3, first 2 shown]
	v_fma_f16 v31, v34, s5, v37
	v_mul_f16_e32 v60, 0xb94e, v60
	v_add_f16_e32 v31, v3, v31
	v_fma_f16 v32, v56, s0, v57
	v_mul_f16_e32 v63, 0x3a95, v63
	v_add_f16_e32 v31, v31, v32
	v_fma_f16 v32, v59, s4, v60
	v_mul_f16_e32 v66, 0xbb7b, v66
	v_add_f16_e32 v31, v31, v32
	v_fma_f16 v32, v62, s3, v63
	v_mul_f16_e32 v69, 0x3bf1, v69
	v_add_f16_e32 v31, v31, v32
	v_fma_f16 v32, v65, s1, v66
	v_add_f16_e32 v31, v31, v32
	v_fma_f16 v32, v68, s2, v69
	v_add_f16_e32 v125, v125, v126
	;; [unrolled: 2-line block ×3, first 2 shown]
	v_fma_f16 v32, v29, s4, -v111
	v_add_f16_e32 v125, v125, v126
	v_fma_f16 v126, v12, s2, v36
	v_add_f16_e32 v32, v18, v32
	v_fma_f16 v36, v39, s2, -v113
	v_add_f16_e32 v32, v32, v36
	v_fma_f16 v36, v41, s3, -v114
	;; [unrolled: 2-line block ×5, first 2 shown]
	v_add_f16_e32 v32, v32, v36
	v_fma_f16 v36, v34, s4, v118
	v_add_f16_e32 v125, v125, v126
	v_fma_f16 v126, v34, s5, -v37
	v_add_f16_e32 v36, v3, v36
	v_fma_f16 v37, v56, s2, v120
	v_add_f16_e32 v36, v36, v37
	v_fma_f16 v37, v59, s3, v121
	;; [unrolled: 2-line block ×5, first 2 shown]
	v_add_f16_e32 v36, v36, v37
	v_fma_f16 v37, v29, s1, -v97
	v_add_f16_e32 v37, v18, v37
	v_fma_f16 v46, v39, s4, -v99
	;; [unrolled: 2-line block ×6, first 2 shown]
	v_add_f16_e32 v37, v37, v46
	v_fma_f16 v46, v34, s1, v104
	v_add_f16_e32 v46, v3, v46
	v_fma_f16 v53, v56, s4, v106
	;; [unrolled: 2-line block ×6, first 2 shown]
	v_add_f16_e32 v46, v46, v53
	v_fma_f16 v53, v29, s2, -v83
	v_fma_f16 v127, v56, s0, -v57
	v_add_f16_e32 v53, v18, v53
	v_fma_f16 v57, v39, s5, -v85
	v_add_f16_e32 v53, v53, v57
	v_fma_f16 v57, v41, s1, -v86
	v_add_f16_e32 v53, v53, v57
	v_fma_f16 v57, v43, s0, -v87
	v_add_f16_e32 v53, v53, v57
	v_fma_f16 v57, v13, s3, -v88
	v_add_f16_e32 v53, v53, v57
	v_fma_f16 v57, v12, s4, -v89
	v_add_f16_e32 v126, v3, v126
	v_add_f16_e32 v53, v53, v57
	v_fma_f16 v57, v34, s2, v90
	v_add_f16_e32 v126, v126, v127
	v_fma_f16 v127, v59, s4, -v60
	v_add_f16_e32 v57, v3, v57
	v_fma_f16 v60, v56, s5, v92
	v_add_f16_e32 v57, v57, v60
	v_fma_f16 v60, v59, s1, v93
	;; [unrolled: 2-line block ×5, first 2 shown]
	v_add_f16_e32 v57, v57, v60
	v_fma_f16 v60, v29, s3, -v71
	v_fma_f16 v28, v29, s0, -v28
	v_add_f16_e32 v126, v126, v127
	v_fma_f16 v127, v62, s3, -v63
	v_add_f16_e32 v60, v18, v60
	v_fma_f16 v63, v39, s1, -v72
	v_add_f16_e32 v28, v18, v28
	v_fma_f16 v29, v39, s3, -v30
	v_add_f16_e32 v60, v60, v63
	v_fma_f16 v63, v41, s5, -v73
	v_add_f16_e32 v28, v28, v29
	v_fma_f16 v29, v41, s2, -v40
	v_add_f16_e32 v60, v60, v63
	v_fma_f16 v63, v43, s4, -v74
	v_add_f16_e32 v28, v28, v29
	v_fma_f16 v29, v43, s1, -v42
	v_add_f16_e32 v60, v60, v63
	v_fma_f16 v63, v13, s2, -v75
	v_add_f16_e32 v28, v28, v29
	v_fma_f16 v13, v13, s4, -v54
	v_add_f16_e32 v60, v60, v63
	v_fma_f16 v63, v12, s0, -v76
	v_add_f16_e32 v13, v28, v13
	v_fma_f16 v12, v12, s5, -v55
	v_add_f16_e32 v60, v60, v63
	v_fma_f16 v63, v34, s3, v77
	v_add_f16_e32 v28, v13, v12
	v_fma_f16 v12, v34, s0, v38
	v_add_f16_e32 v63, v3, v63
	v_add_f16_e32 v12, v3, v12
	;; [unrolled: 1-line block ×12, first 2 shown]
	v_fma_f16 v13, v56, s3, v58
	v_add_f16_e32 v3, v51, v3
	v_add_f16_e32 v126, v126, v127
	v_fma_f16 v127, v65, s1, -v66
	v_fma_f16 v66, v56, s1, v78
	v_add_f16_e32 v12, v12, v13
	v_fma_f16 v13, v59, s2, v61
	v_add_f16_e32 v17, v52, v3
	v_add_f16_e32 v3, v25, v18
	;; [unrolled: 1-line block ×3, first 2 shown]
	v_fma_f16 v66, v59, s5, v79
	v_add_f16_e32 v12, v12, v13
	v_fma_f16 v13, v62, s1, v64
	v_add_f16_e32 v3, v3, v26
	v_add_f16_e32 v63, v63, v66
	v_fma_f16 v66, v62, s4, v80
	v_add_f16_e32 v12, v12, v13
	v_fma_f16 v13, v65, s4, v67
	v_add_f16_e32 v3, v3, v16
	v_add_f16_e32 v63, v63, v66
	;; [unrolled: 5-line block ×3, first 2 shown]
	v_fma_f16 v66, v68, s0, v82
	v_add_f16_e32 v29, v12, v13
	v_add_f16_e32 v3, v3, v11
	v_mad_u64_u32 v[11:12], s[0:1], s20, v10, 0
	v_add_f16_e32 v3, v3, v9
	v_add_f16_e32 v3, v3, v35
	;; [unrolled: 1-line block ×4, first 2 shown]
	v_mov_b32_e32 v3, v12
	v_mad_u64_u32 v[12:13], s[0:1], s21, v10, v[3:4]
	v_add_f16_e32 v3, v22, v9
	v_add_f16_e32 v3, v23, v3
	;; [unrolled: 1-line block ×3, first 2 shown]
	v_mov_b32_e32 v3, s11
	v_add_co_u32_e32 v13, vcc, s10, v0
	v_addc_co_u32_e32 v3, vcc, v3, v1, vcc
	v_lshlrev_b64 v[0:1], 2, v[4:5]
	v_add_u32_e32 v5, 34, v10
	v_add_co_u32_e32 v13, vcc, v13, v0
	v_addc_co_u32_e32 v14, vcc, v3, v1, vcc
	v_mad_u64_u32 v[3:4], s[0:1], s20, v5, 0
	v_lshlrev_b64 v[0:1], 2, v[11:12]
	v_pack_b32_f16 v9, v17, v9
	v_mad_u64_u32 v[4:5], s[0:1], s21, v5, v[4:5]
	v_add_u32_e32 v5, 0x44, v10
	v_mad_u64_u32 v[11:12], s[0:1], s20, v5, 0
	v_add_co_u32_e32 v0, vcc, v13, v0
	v_addc_co_u32_e32 v1, vcc, v14, v1, vcc
	global_store_dword v[0:1], v9, off
	v_lshlrev_b64 v[0:1], 2, v[3:4]
	v_mov_b32_e32 v3, v12
	v_mad_u64_u32 v[3:4], s[0:1], s21, v5, v[3:4]
	v_add_co_u32_e32 v0, vcc, v13, v0
	v_addc_co_u32_e32 v1, vcc, v14, v1, vcc
	v_pack_b32_f16 v4, v29, v28
	v_add_u32_e32 v5, 0x66, v10
	global_store_dword v[0:1], v4, off
	v_mov_b32_e32 v12, v3
	v_mad_u64_u32 v[3:4], s[0:1], s20, v5, 0
	v_lshlrev_b64 v[0:1], 2, v[11:12]
	v_add_f16_e32 v63, v63, v66
	v_mad_u64_u32 v[4:5], s[0:1], s21, v5, v[4:5]
	v_add_u32_e32 v5, 0x88, v10
	v_mad_u64_u32 v[11:12], s[0:1], s20, v5, 0
	v_add_co_u32_e32 v0, vcc, v13, v0
	v_addc_co_u32_e32 v1, vcc, v14, v1, vcc
	v_pack_b32_f16 v9, v63, v60
	global_store_dword v[0:1], v9, off
	v_lshlrev_b64 v[0:1], 2, v[3:4]
	v_mov_b32_e32 v3, v12
	v_mad_u64_u32 v[3:4], s[0:1], s21, v5, v[3:4]
	v_add_co_u32_e32 v0, vcc, v13, v0
	v_addc_co_u32_e32 v1, vcc, v14, v1, vcc
	v_pack_b32_f16 v4, v57, v53
	v_add_u32_e32 v5, 0xaa, v10
	global_store_dword v[0:1], v4, off
	v_mov_b32_e32 v12, v3
	v_mad_u64_u32 v[3:4], s[0:1], s20, v5, 0
	v_lshlrev_b64 v[0:1], 2, v[11:12]
	v_pack_b32_f16 v9, v46, v37
	v_mad_u64_u32 v[4:5], s[0:1], s21, v5, v[4:5]
	v_add_u32_e32 v5, 0xcc, v10
	v_mad_u64_u32 v[11:12], s[0:1], s20, v5, 0
	v_add_co_u32_e32 v0, vcc, v13, v0
	v_addc_co_u32_e32 v1, vcc, v14, v1, vcc
	global_store_dword v[0:1], v9, off
	v_lshlrev_b64 v[0:1], 2, v[3:4]
	v_mov_b32_e32 v3, v12
	v_mad_u64_u32 v[3:4], s[0:1], s21, v5, v[3:4]
	v_add_co_u32_e32 v0, vcc, v13, v0
	v_addc_co_u32_e32 v1, vcc, v14, v1, vcc
	v_pack_b32_f16 v4, v36, v32
	v_add_u32_e32 v5, 0xee, v10
	global_store_dword v[0:1], v4, off
	v_mov_b32_e32 v12, v3
	v_mad_u64_u32 v[3:4], s[0:1], s20, v5, 0
	v_lshlrev_b64 v[0:1], 2, v[11:12]
	v_pack_b32_f16 v9, v31, v27
	v_mad_u64_u32 v[4:5], s[0:1], s21, v5, v[4:5]
	v_add_u32_e32 v5, 0x110, v10
	v_mad_u64_u32 v[11:12], s[0:1], s20, v5, 0
	v_add_co_u32_e32 v0, vcc, v13, v0
	v_addc_co_u32_e32 v1, vcc, v14, v1, vcc
	global_store_dword v[0:1], v9, off
	v_lshlrev_b64 v[0:1], 2, v[3:4]
	v_mov_b32_e32 v3, v12
	v_mad_u64_u32 v[3:4], s[0:1], s21, v5, v[3:4]
	v_add_f16_e32 v126, v126, v127
	v_fma_f16 v127, v68, s2, -v69
	v_add_f16_e32 v126, v126, v127
	v_add_co_u32_e32 v0, vcc, v13, v0
	v_addc_co_u32_e32 v1, vcc, v14, v1, vcc
	v_pack_b32_f16 v4, v126, v125
	v_add_u32_e32 v5, 0x132, v10
	global_store_dword v[0:1], v4, off
	v_mov_b32_e32 v12, v3
	v_mad_u64_u32 v[3:4], s[0:1], s20, v5, 0
	v_lshlrev_b64 v[0:1], 2, v[11:12]
	v_pack_b32_f16 v9, v119, v112
	v_mad_u64_u32 v[4:5], s[0:1], s21, v5, v[4:5]
	v_add_u32_e32 v5, 0x154, v10
	v_mad_u64_u32 v[11:12], s[0:1], s20, v5, 0
	v_add_co_u32_e32 v0, vcc, v13, v0
	v_addc_co_u32_e32 v1, vcc, v14, v1, vcc
	global_store_dword v[0:1], v9, off
	v_lshlrev_b64 v[0:1], 2, v[3:4]
	v_mov_b32_e32 v3, v12
	v_mad_u64_u32 v[3:4], s[0:1], s21, v5, v[3:4]
	v_add_co_u32_e32 v0, vcc, v13, v0
	v_addc_co_u32_e32 v1, vcc, v14, v1, vcc
	v_pack_b32_f16 v4, v105, v98
	v_add_u32_e32 v5, 0x176, v10
	global_store_dword v[0:1], v4, off
	v_mov_b32_e32 v12, v3
	v_mad_u64_u32 v[3:4], s[0:1], s20, v5, 0
	v_lshlrev_b64 v[0:1], 2, v[11:12]
	v_pack_b32_f16 v11, v91, v84
	v_mad_u64_u32 v[4:5], s[0:1], s21, v5, v[4:5]
	v_add_u32_e32 v5, 0x198, v10
	v_mad_u64_u32 v[9:10], s[0:1], s20, v5, 0
	v_add_co_u32_e32 v0, vcc, v13, v0
	v_addc_co_u32_e32 v1, vcc, v14, v1, vcc
	global_store_dword v[0:1], v11, off
	v_lshlrev_b64 v[0:1], 2, v[3:4]
	v_mov_b32_e32 v3, v10
	v_mad_u64_u32 v[3:4], s[0:1], s21, v5, v[3:4]
	v_add_co_u32_e32 v0, vcc, v13, v0
	v_addc_co_u32_e32 v1, vcc, v14, v1, vcc
	v_pack_b32_f16 v4, v8, v7
	v_mov_b32_e32 v10, v3
	global_store_dword v[0:1], v4, off
	v_lshlrev_b64 v[0:1], 2, v[9:10]
	v_pack_b32_f16 v2, v6, v2
	v_add_co_u32_e32 v0, vcc, v13, v0
	v_addc_co_u32_e32 v1, vcc, v14, v1, vcc
	global_store_dword v[0:1], v2, off
.LBB0_26:
	s_endpgm
	.section	.rodata,"a",@progbits
	.p2align	6, 0x0
	.amdhsa_kernel fft_rtc_back_len442_factors_17_2_13_wgs_238_tpt_34_halfLds_half_op_CI_CI_sbrr_dirReg
		.amdhsa_group_segment_fixed_size 0
		.amdhsa_private_segment_fixed_size 0
		.amdhsa_kernarg_size 104
		.amdhsa_user_sgpr_count 6
		.amdhsa_user_sgpr_private_segment_buffer 1
		.amdhsa_user_sgpr_dispatch_ptr 0
		.amdhsa_user_sgpr_queue_ptr 0
		.amdhsa_user_sgpr_kernarg_segment_ptr 1
		.amdhsa_user_sgpr_dispatch_id 0
		.amdhsa_user_sgpr_flat_scratch_init 0
		.amdhsa_user_sgpr_private_segment_size 0
		.amdhsa_uses_dynamic_stack 0
		.amdhsa_system_sgpr_private_segment_wavefront_offset 0
		.amdhsa_system_sgpr_workgroup_id_x 1
		.amdhsa_system_sgpr_workgroup_id_y 0
		.amdhsa_system_sgpr_workgroup_id_z 0
		.amdhsa_system_sgpr_workgroup_info 0
		.amdhsa_system_vgpr_workitem_id 0
		.amdhsa_next_free_vgpr 128
		.amdhsa_next_free_sgpr 32
		.amdhsa_reserve_vcc 1
		.amdhsa_reserve_flat_scratch 0
		.amdhsa_float_round_mode_32 0
		.amdhsa_float_round_mode_16_64 0
		.amdhsa_float_denorm_mode_32 3
		.amdhsa_float_denorm_mode_16_64 3
		.amdhsa_dx10_clamp 1
		.amdhsa_ieee_mode 1
		.amdhsa_fp16_overflow 0
		.amdhsa_exception_fp_ieee_invalid_op 0
		.amdhsa_exception_fp_denorm_src 0
		.amdhsa_exception_fp_ieee_div_zero 0
		.amdhsa_exception_fp_ieee_overflow 0
		.amdhsa_exception_fp_ieee_underflow 0
		.amdhsa_exception_fp_ieee_inexact 0
		.amdhsa_exception_int_div_zero 0
	.end_amdhsa_kernel
	.text
.Lfunc_end0:
	.size	fft_rtc_back_len442_factors_17_2_13_wgs_238_tpt_34_halfLds_half_op_CI_CI_sbrr_dirReg, .Lfunc_end0-fft_rtc_back_len442_factors_17_2_13_wgs_238_tpt_34_halfLds_half_op_CI_CI_sbrr_dirReg
                                        ; -- End function
	.section	.AMDGPU.csdata,"",@progbits
; Kernel info:
; codeLenInByte = 13648
; NumSgprs: 36
; NumVgprs: 128
; ScratchSize: 0
; MemoryBound: 0
; FloatMode: 240
; IeeeMode: 1
; LDSByteSize: 0 bytes/workgroup (compile time only)
; SGPRBlocks: 4
; VGPRBlocks: 31
; NumSGPRsForWavesPerEU: 36
; NumVGPRsForWavesPerEU: 128
; Occupancy: 2
; WaveLimiterHint : 1
; COMPUTE_PGM_RSRC2:SCRATCH_EN: 0
; COMPUTE_PGM_RSRC2:USER_SGPR: 6
; COMPUTE_PGM_RSRC2:TRAP_HANDLER: 0
; COMPUTE_PGM_RSRC2:TGID_X_EN: 1
; COMPUTE_PGM_RSRC2:TGID_Y_EN: 0
; COMPUTE_PGM_RSRC2:TGID_Z_EN: 0
; COMPUTE_PGM_RSRC2:TIDIG_COMP_CNT: 0
	.type	__hip_cuid_e856bf0e31fd68b8,@object ; @__hip_cuid_e856bf0e31fd68b8
	.section	.bss,"aw",@nobits
	.globl	__hip_cuid_e856bf0e31fd68b8
__hip_cuid_e856bf0e31fd68b8:
	.byte	0                               ; 0x0
	.size	__hip_cuid_e856bf0e31fd68b8, 1

	.ident	"AMD clang version 19.0.0git (https://github.com/RadeonOpenCompute/llvm-project roc-6.4.0 25133 c7fe45cf4b819c5991fe208aaa96edf142730f1d)"
	.section	".note.GNU-stack","",@progbits
	.addrsig
	.addrsig_sym __hip_cuid_e856bf0e31fd68b8
	.amdgpu_metadata
---
amdhsa.kernels:
  - .args:
      - .actual_access:  read_only
        .address_space:  global
        .offset:         0
        .size:           8
        .value_kind:     global_buffer
      - .offset:         8
        .size:           8
        .value_kind:     by_value
      - .actual_access:  read_only
        .address_space:  global
        .offset:         16
        .size:           8
        .value_kind:     global_buffer
      - .actual_access:  read_only
        .address_space:  global
        .offset:         24
        .size:           8
        .value_kind:     global_buffer
      - .actual_access:  read_only
        .address_space:  global
        .offset:         32
        .size:           8
        .value_kind:     global_buffer
      - .offset:         40
        .size:           8
        .value_kind:     by_value
      - .actual_access:  read_only
        .address_space:  global
        .offset:         48
        .size:           8
        .value_kind:     global_buffer
      - .actual_access:  read_only
        .address_space:  global
        .offset:         56
        .size:           8
        .value_kind:     global_buffer
      - .offset:         64
        .size:           4
        .value_kind:     by_value
      - .actual_access:  read_only
        .address_space:  global
        .offset:         72
        .size:           8
        .value_kind:     global_buffer
      - .actual_access:  read_only
        .address_space:  global
        .offset:         80
        .size:           8
        .value_kind:     global_buffer
      - .actual_access:  read_only
        .address_space:  global
        .offset:         88
        .size:           8
        .value_kind:     global_buffer
      - .actual_access:  write_only
        .address_space:  global
        .offset:         96
        .size:           8
        .value_kind:     global_buffer
    .group_segment_fixed_size: 0
    .kernarg_segment_align: 8
    .kernarg_segment_size: 104
    .language:       OpenCL C
    .language_version:
      - 2
      - 0
    .max_flat_workgroup_size: 238
    .name:           fft_rtc_back_len442_factors_17_2_13_wgs_238_tpt_34_halfLds_half_op_CI_CI_sbrr_dirReg
    .private_segment_fixed_size: 0
    .sgpr_count:     36
    .sgpr_spill_count: 0
    .symbol:         fft_rtc_back_len442_factors_17_2_13_wgs_238_tpt_34_halfLds_half_op_CI_CI_sbrr_dirReg.kd
    .uniform_work_group_size: 1
    .uses_dynamic_stack: false
    .vgpr_count:     128
    .vgpr_spill_count: 0
    .wavefront_size: 64
amdhsa.target:   amdgcn-amd-amdhsa--gfx906
amdhsa.version:
  - 1
  - 2
...

	.end_amdgpu_metadata
